;; amdgpu-corpus repo=ROCm/aiter kind=harvested arch=n/a opt=n/a

/root/src/amdgpu-assembly/repos/ROCm__aiter/hsa/gfx942/fmoe/gelu/fmoe_fp16_pertokenInt8_g1u1_vs_gelu_1tg_32x384.co:	file format elf64-amdgpu

Disassembly of section .text:

0000000000002e00 <_ZN5aiter46fmoe_fp16_pertokenInt8_g1u1_vs_gelu_1tg_32x384E>:
	s_and_b32 s1, s1, 0xffff                                   // 000000002E00: 8601FF01 0000FFFF
	s_load_dwordx2 s[8:9], s[0:1], 0x0                         // 000000002E08: C0060200 00000000
	s_load_dwordx2 s[20:21], s[0:1], 0x10                      // 000000002E10: C0060500 00000010
	s_load_dwordx2 s[24:25], s[0:1], 0x20                      // 000000002E18: C0060600 00000020
	s_load_dwordx2 s[50:51], s[0:1], 0x30                      // 000000002E20: C0060C80 00000030
	s_load_dwordx2 s[12:13], s[0:1], 0x40                      // 000000002E28: C0060300 00000040
	s_load_dwordx2 s[28:29], s[0:1], 0x50                      // 000000002E30: C0060700 00000050
	s_load_dwordx2 s[32:33], s[0:1], 0x60                      // 000000002E38: C0060800 00000060
	s_load_dwordx2 s[16:17], s[0:1], 0x70                      // 000000002E40: C0060400 00000070
	s_load_dwordx2 s[36:37], s[0:1], 0x80                      // 000000002E48: C0060900 00000080
	s_load_dwordx2 s[44:45], s[0:1], 0x90                      // 000000002E50: C0060B00 00000090
	s_load_dwordx2 s[40:41], s[0:1], 0xa0                      // 000000002E58: C0060A00 000000A0
	s_load_dwordx2 s[46:47], s[0:1], 0xb0                      // 000000002E60: C0060B80 000000B0
	s_load_dword s64, s[0:1], 0xc0                             // 000000002E68: C0021000 000000C0
	s_load_dword s65, s[0:1], 0xd0                             // 000000002E70: C0021040 000000D0
	s_load_dword s66, s[0:1], 0xe0                             // 000000002E78: C0021080 000000E0
	s_load_dword s67, s[0:1], 0xf0                             // 000000002E80: C00210C0 000000F0
	s_load_dword s68, s[0:1], 0x100                            // 000000002E88: C0021100 00000100
	s_load_dword s69, s[0:1], 0x110                            // 000000002E90: C0021140 00000110
	s_load_dword s70, s[0:1], 0x120                            // 000000002E98: C0021180 00000120
	s_load_dword s71, s[0:1], 0x130                            // 000000002EA0: C00211C0 00000130
	s_load_dword s72, s[0:1], 0x140                            // 000000002EA8: C0021200 00000140
	s_load_dword s73, s[0:1], 0x150                            // 000000002EB0: C0021240 00000150
	s_load_dword s74, s[0:1], 0x160                            // 000000002EB8: C0021280 00000160
	s_load_dword s75, s[0:1], 0x170                            // 000000002EC0: C00212C0 00000170
	s_load_dword s76, s[0:1], 0x180                            // 000000002EC8: C0021300 00000180
	v_lshrrev_b32_e32 v1, 10, v0                               // 000000002ED0: 2002008A
	v_lshrrev_b32_e32 v2, 10, v1                               // 000000002ED4: 2004028A
	v_and_b32_e32 v2, 0x3ff, v2                                // 000000002ED8: 260404FF 000003FF
	v_and_b32_e32 v1, 0x3ff, v1                                // 000000002EE0: 260202FF 000003FF
	v_and_b32_e32 v0, 0x3ff, v0                                // 000000002EE8: 260000FF 000003FF
	v_lshrrev_b32_e32 v3, 6, v0                                // 000000002EF0: 20060086
	v_and_b32_e32 v0, 63, v0                                   // 000000002EF4: 260000BF
	s_mov_b32 s2, s2                                           // 000000002EF8: BE820002
	s_mov_b32 s3, s3                                           // 000000002EFC: BE830003
	s_mov_b32 s4, s4                                           // 000000002F00: BE840004
	v_readfirstlane_b32 s7, v3                                 // 000000002F04: 7E0E0503
	s_waitcnt lgkmcnt(0)                                       // 000000002F08: BF8CC07F
	s_and_b32 s51, s51, 0xffff                                 // 000000002F0C: 8633FF33 0000FFFF
	s_load_dword s50, s[50:51], 0x0                            // 000000002F14: C0020C99 00000000
	s_and_b32 s45, s45, 0xffff                                 // 000000002F1C: 862DFF2D 0000FFFF
	s_and_b32 s47, s47, 0xffff                                 // 000000002F24: 862FFF2F 0000FFFF
	s_and_b32 s9, s9, 0xffff                                   // 000000002F2C: 8609FF09 0000FFFF
	s_mul_i32 s60, s66, s68                                    // 000000002F34: 923C4442
	s_mul_i32 s61, s66, 4                                      // 000000002F38: 923D8442
	s_mov_b32 s22, s60                                         // 000000002F3C: BE96003C
	s_mov_b32 s26, -16                                         // 000000002F40: BE9A00D0
	s_mov_b32 s14, -16                                         // 000000002F44: BE8E00D0
	s_mov_b32 s42, -16                                         // 000000002F48: BEAA00D0
	s_mov_b32 s30, s61                                         // 000000002F4C: BE9E003D
	s_mov_b32 s34, 0x600                                       // 000000002F50: BEA200FF 00000600
	s_mov_b32 s38, 0x600                                       // 000000002F58: BEA600FF 00000600
	s_mov_b32 s18, -16                                         // 000000002F60: BE9200D0
	s_mov_b32 s23, 0x20000                                     // 000000002F64: BE9700FF 00020000
	s_mov_b32 s27, 0x20000                                     // 000000002F6C: BE9B00FF 00020000
	s_mov_b32 s15, 0x20000                                     // 000000002F74: BE8F00FF 00020000
	s_mov_b32 s43, 0x20000                                     // 000000002F7C: BEAB00FF 00020000
	s_mov_b32 s31, 0x20000                                     // 000000002F84: BE9F00FF 00020000
	s_mov_b32 s35, 0x20000                                     // 000000002F8C: BEA300FF 00020000
	s_mov_b32 s39, 0x20000                                     // 000000002F94: BEA700FF 00020000
	s_mov_b32 s19, 0x20000                                     // 000000002F9C: BE9300FF 00020000
	s_and_b32 s21, s21, 0xffff                                 // 000000002FA4: 8615FF15 0000FFFF
	s_and_b32 s25, s25, 0xffff                                 // 000000002FAC: 8619FF19 0000FFFF
	s_and_b32 s13, s13, 0xffff                                 // 000000002FB4: 860DFF0D 0000FFFF
	s_and_b32 s41, s41, 0xffff                                 // 000000002FBC: 8629FF29 0000FFFF
	s_and_b32 s29, s29, 0xffff                                 // 000000002FC4: 861DFF1D 0000FFFF
	s_and_b32 s33, s33, 0xffff                                 // 000000002FCC: 8621FF21 0000FFFF
	s_and_b32 s37, s37, 0xffff                                 // 000000002FD4: 8625FF25 0000FFFF
	s_and_b32 s17, s17, 0xffff                                 // 000000002FDC: 8611FF11 0000FFFF
	s_or_b32 s21, s21, 0x40000                                 // 000000002FE4: 8715FF15 00040000
	s_or_b32 s25, s25, 0x40000                                 // 000000002FEC: 8719FF19 00040000
	s_or_b32 s13, s13, 0x40000                                 // 000000002FF4: 870DFF0D 00040000
	s_or_b32 s41, s41, 0x40000                                 // 000000002FFC: 8729FF29 00040000
	s_or_b32 s29, s29, 0x40000                                 // 000000003004: 871DFF1D 00040000
	s_or_b32 s33, s33, 0x40000                                 // 00000000300C: 8721FF21 00040000
	s_or_b32 s37, s37, 0x40000                                 // 000000003014: 8725FF25 00040000
	s_or_b32 s17, s17, 0x40000                                 // 00000000301C: 8711FF11 00040000
	v_accvgpr_write_b32 a191, 0                                // 000000003024: D3D940BF 18000080
	v_mov_b32_e32 v239, 0                                      // 00000000302C: 7FDE0280
	s_waitcnt lgkmcnt(0)                                       // 000000003030: BF8CC07F
	s_mul_i32 s60, s3, 32                                      // 000000003034: 923CA003
	s_cmp_lt_i32 s60, s50                                      // 000000003038: BF04323C
	s_cbranch_scc0 label_1FCD                                  // 00000000303C: BF841F3D
	s_mov_b32 s80, 0                                           // 000000003040: BED00080
	s_mov_b32 s81, s64                                         // 000000003044: BED10040
	s_mul_i32 s60, s3, 4                                       // 000000003048: 923C8403
	s_add_u32 s46, s60, s46                                    // 00000000304C: 802E2E3C
	s_addc_u32 s47, 0, s47                                     // 000000003050: 822F2F80
	s_load_dword s5, s[46:47], 0x0                             // 000000003054: C0020157 00000000
	s_mul_i32 s60, s3, 32                                      // 00000000305C: 923CA003
	s_mul_i32 s60, 4, s60                                      // 000000003060: 923C3C84
	v_and_b32_e32 v50, 15, v0                                  // 000000003064: 2664008F
	v_lshlrev_b32_e32 v50, 2, v50                              // 000000003068: 24646482
	v_add_u32_e32 v50, s60, v50                                // 00000000306C: 6864643C
	v_mov_b32_e32 v51, 0                                       // 000000003070: 7E660280
	global_load_dword v6, v50, s[44:45]                        // 000000003074: DC508000 062C0032
	v_add_u32_e32 v50, 64, v50                                 // 00000000307C: 686464C0
	global_load_dword v7, v50, s[44:45]                        // 000000003080: DC508000 072C0032
	s_mul_i32 s60, s3, 32                                      // 000000003088: 923CA003
	s_add_u32 s60, s7, s60                                     // 00000000308C: 803C3C07
	s_mul_i32 s60, 4, s60                                      // 000000003090: 923C3C84
	s_add_u32 s44, s60, s44                                    // 000000003094: 802C2C3C
	s_addc_u32 s45, 0, s45                                     // 000000003098: 822D2D80
	s_load_dword s82, s[44:45], 0x0                            // 00000000309C: C0021496 00000000
	s_load_dword s83, s[44:45], 0x10                           // 0000000030A4: C00214D6 00000010
	s_load_dword s84, s[44:45], 0x20                           // 0000000030AC: C0021516 00000020
	s_load_dword s85, s[44:45], 0x30                           // 0000000030B4: C0021556 00000030
	s_load_dword s86, s[44:45], 0x40                           // 0000000030BC: C0021596 00000040
	s_load_dword s87, s[44:45], 0x50                           // 0000000030C4: C00215D6 00000050
	s_load_dword s88, s[44:45], 0x60                           // 0000000030CC: C0021616 00000060
	s_load_dword s89, s[44:45], 0x70                           // 0000000030D4: C0021656 00000070
	s_waitcnt lgkmcnt(0)                                       // 0000000030DC: BF8CC07F
	v_lshlrev_b32_e32 v50, 2, v0                               // 0000000030E0: 24640082
	s_and_b32 s82, s82, 0xffffff                               // 0000000030E4: 8652FF52 00FFFFFF
	s_mul_i32 s60, s82, s68                                    // 0000000030EC: 923C4452
	v_add_u32_e64 v26, v50, s60                                // 0000000030F0: D134001A 00007932
	s_and_b32 s83, s83, 0xffffff                               // 0000000030F8: 8653FF53 00FFFFFF
	s_mul_i32 s60, s83, s68                                    // 000000003100: 923C4453
	v_add_u32_e64 v27, v50, s60                                // 000000003104: D134001B 00007932
	s_and_b32 s84, s84, 0xffffff                               // 00000000310C: 8654FF54 00FFFFFF
	s_mul_i32 s60, s84, s68                                    // 000000003114: 923C4454
	v_add_u32_e64 v28, v50, s60                                // 000000003118: D134001C 00007932
	s_and_b32 s85, s85, 0xffffff                               // 000000003120: 8655FF55 00FFFFFF
	s_mul_i32 s60, s85, s68                                    // 000000003128: 923C4455
	v_add_u32_e64 v29, v50, s60                                // 00000000312C: D134001D 00007932
	s_and_b32 s86, s86, 0xffffff                               // 000000003134: 8656FF56 00FFFFFF
	s_mul_i32 s60, s86, s68                                    // 00000000313C: 923C4456
	v_add_u32_e64 v30, v50, s60                                // 000000003140: D134001E 00007932
	s_and_b32 s87, s87, 0xffffff                               // 000000003148: 8657FF57 00FFFFFF
	s_mul_i32 s60, s87, s68                                    // 000000003150: 923C4457
	v_add_u32_e64 v31, v50, s60                                // 000000003154: D134001F 00007932
	s_and_b32 s88, s88, 0xffffff                               // 00000000315C: 8658FF58 00FFFFFF
	s_mul_i32 s60, s88, s68                                    // 000000003164: 923C4458
	v_add_u32_e64 v32, v50, s60                                // 000000003168: D1340020 00007932
	s_and_b32 s89, s89, 0xffffff                               // 000000003170: 8659FF59 00FFFFFF
	s_mul_i32 s60, s89, s68                                    // 000000003178: 923C4459
	v_add_u32_e64 v33, v50, s60                                // 00000000317C: D1340021 00007932
	v_lshlrev_b32_e32 v50, 2, v0                               // 000000003184: 24640082
	s_mul_i32 s60, s82, s71                                    // 000000003188: 923C4752
	v_add_u32_e64 v80, v50, s60                                // 00000000318C: D1340050 00007932
	v_mov_b32_e32 v81, 0                                       // 000000003194: 7EA20280
	s_mul_i32 s60, s83, s71                                    // 000000003198: 923C4753
	v_add_u32_e64 v82, v50, s60                                // 00000000319C: D1340052 00007932
	v_mov_b32_e32 v83, 0                                       // 0000000031A4: 7EA60280
	s_mul_i32 s60, s84, s71                                    // 0000000031A8: 923C4754
	v_add_u32_e64 v84, v50, s60                                // 0000000031AC: D1340054 00007932
	v_mov_b32_e32 v85, 0                                       // 0000000031B4: 7EAA0280
	s_mul_i32 s60, s85, s71                                    // 0000000031B8: 923C4755
	v_add_u32_e64 v86, v50, s60                                // 0000000031BC: D1340056 00007932
	v_mov_b32_e32 v87, 0                                       // 0000000031C4: 7EAE0280
	s_mul_i32 s60, s86, s71                                    // 0000000031C8: 923C4756
	v_add_u32_e64 v88, v50, s60                                // 0000000031CC: D1340058 00007932
	v_mov_b32_e32 v89, 0                                       // 0000000031D4: 7EB20280
	s_mul_i32 s60, s87, s71                                    // 0000000031D8: 923C4757
	v_add_u32_e64 v90, v50, s60                                // 0000000031DC: D134005A 00007932
	v_mov_b32_e32 v91, 0                                       // 0000000031E4: 7EB60280
	s_mul_i32 s60, s88, s71                                    // 0000000031E8: 923C4758
	v_add_u32_e64 v92, v50, s60                                // 0000000031EC: D134005C 00007932
	v_mov_b32_e32 v93, 0                                       // 0000000031F4: 7EBA0280
	s_mul_i32 s60, s89, s71                                    // 0000000031F8: 923C4759
	v_add_u32_e64 v94, v50, s60                                // 0000000031FC: D134005E 00007932
	v_mov_b32_e32 v95, 0                                       // 000000003204: 7EBE0280
	s_mul_i32 s60, s7, 0x820                                   // 000000003208: 923CFF07 00000820
	s_add_u32 s50, 0, s60                                      // 000000003210: 80323C80
	s_add_u32 s51, 0x2080, s50                                 // 000000003214: 803332FF 00002080
	v_lshrrev_b32_e32 v50, 4, v0                               // 00000000321C: 20640084
	v_lshlrev_b32_e32 v51, 2, v50                              // 000000003220: 24666482
	v_and_b32_e32 v50, 15, v0                                  // 000000003224: 2664008F
	v_lshrrev_b32_e32 v52, 2, v50                              // 000000003228: 20686482
	v_lshlrev_b32_e32 v52, 6, v52                              // 00000000322C: 24686886
	v_add_u32_e32 v51, v52, v51                                // 000000003230: 68666734
	v_and_b32_e32 v50, 3, v0                                   // 000000003234: 26640083
	v_mul_i32_i24_e32 v52, 0x208, v50                          // 000000003238: 0C6864FF 00000208
	v_add_u32_e32 v51, v52, v51                                // 000000003240: 68666734
	v_lshlrev_b32_e32 v2, 2, v51                               // 000000003244: 24046682
	s_mul_i32 s60, s2, 0x180                                   // 000000003248: 923CFF02 00000180
	s_mul_i32 s60, s60, s69                                    // 000000003250: 923C453C
	s_mul_i32 s61, s5, s72                                     // 000000003254: 923D4805
	s_add_u32 s60, s61, s60                                    // 000000003258: 803C3C3D
	s_add_u32 s24, s60, s24                                    // 00000000325C: 8018183C
	s_addc_u32 s25, 0, s25                                     // 000000003260: 82191980
	s_mul_i32 s60, s7, 16                                      // 000000003264: 923C9007
	s_mul_i32 s60, s60, s69                                    // 000000003268: 923C453C
	v_lshlrev_b32_e32 v34, 4, v0                               // 00000000326C: 24440084
	v_add_u32_e32 v34, s60, v34                                // 000000003270: 6844443C
	s_mul_i32 s60, 64, s69                                     // 000000003274: 923C45C0
	v_add_u32_e32 v35, s60, v34                                // 000000003278: 6846443C
	v_add_u32_e32 v36, s60, v35                                // 00000000327C: 6848463C
	v_add_u32_e32 v37, s60, v36                                // 000000003280: 684A483C
	v_add_u32_e32 v38, s60, v37                                // 000000003284: 684C4A3C
	v_add_u32_e32 v39, s60, v38                                // 000000003288: 684E4C3C
	s_mov_b32 s92, s24                                         // 00000000328C: BEDC0018
	s_mov_b32 s93, s25                                         // 000000003290: BEDD0019
	s_mov_b32 s94, s26                                         // 000000003294: BEDE001A
	s_mov_b32 s95, s27                                         // 000000003298: BEDF001B
	s_mul_i32 s60, s69, s65                                    // 00000000329C: 923C4145
	s_add_u32 s92, s60, s92                                    // 0000000032A0: 805C5C3C
	s_addc_u32 s93, 0, s93                                     // 0000000032A4: 825D5D80
	s_mul_i32 s60, s2, 0x1800                                  // 0000000032A8: 923CFF02 00001800
	s_mul_i32 s61, s5, s73                                     // 0000000032B0: 923D4905
	s_add_u32 s60, s61, s60                                    // 0000000032B4: 803C3C3D
	s_add_u32 s12, s60, s12                                    // 0000000032B8: 800C0C3C
	s_addc_u32 s13, 0, s13                                     // 0000000032BC: 820D0D80
	s_mul_i32 s60, s7, 16                                      // 0000000032C0: 923C9007
	s_mul_i32 s60, s60, s70                                    // 0000000032C4: 923C463C
	v_lshlrev_b32_e32 v40, 4, v0                               // 0000000032C8: 24500084
	v_add_u32_e32 v40, s60, v40                                // 0000000032CC: 6850503C
	s_mul_i32 s60, 64, s70                                     // 0000000032D0: 923C46C0
	v_add_u32_e32 v41, s60, v40                                // 0000000032D4: 6852503C
	v_add_u32_e32 v42, s60, v41                                // 0000000032D8: 6854523C
	v_add_u32_e32 v43, s60, v42                                // 0000000032DC: 6856543C
	s_mul_i32 s60, s70, 0x100                                  // 0000000032E0: 923CFF46 00000100
	s_mov_b32 s78, 0x400                                       // 0000000032E8: BECE00FF 00000400
	s_mul_i32 s61, s78, 5                                      // 0000000032F0: 923D854E
	s_sub_u32 s56, s60, s61                                    // 0000000032F4: 80B83D3C
	s_mul_i32 s60, s3, 32                                      // 0000000032F8: 923CA003
	s_mul_i32 s60, 4, s60                                      // 0000000032FC: 923C3C84
	s_add_u32 s40, s60, s40                                    // 000000003300: 8028283C
	s_addc_u32 s41, 0, s41                                     // 000000003304: 82292980
	v_and_b32_e32 v50, 15, v0                                  // 000000003308: 2664008F
	v_lshlrev_b32_e32 v8, 2, v50                               // 00000000330C: 24106482
	v_add_u32_e32 v9, 64, v8                                   // 000000003310: 681210C0
	v_lshrrev_b32_e32 v50, 4, v0                               // 000000003314: 20640084
	v_lshlrev_b32_e32 v51, 2, v50                              // 000000003318: 24666482
	v_and_b32_e32 v50, 15, v0                                  // 00000000331C: 2664008F
	v_lshrrev_b32_e32 v52, 2, v50                              // 000000003320: 20686482
	v_lshlrev_b32_e32 v52, 6, v52                              // 000000003324: 24686886
	v_add_u32_e32 v51, v52, v51                                // 000000003328: 68666734
	v_and_b32_e32 v50, 3, v0                                   // 00000000332C: 26640083
	v_add_u32_e32 v51, v50, v51                                // 000000003330: 68666732
	v_lshlrev_b32_e32 v10, 2, v51                              // 000000003334: 24146682
	v_add_u32_e32 v11, 0x400, v10                              // 000000003338: 681614FF 00000400
	s_mul_i32 s60, s7, 16                                      // 000000003340: 923C9007
	s_mul_i32 s60, s60, 4                                      // 000000003344: 923C843C
	v_add_u32_e32 v10, s60, v10                                // 000000003348: 6814143C
	v_add_u32_e32 v11, s60, v11                                // 00000000334C: 6816163C
	v_mov_b32_e32 v5, v10                                      // 000000003350: 7E0A030A
	s_mul_i32 s60, s2, 0x180                                   // 000000003354: 923CFF02 00000180
	s_mul_i32 s60, s60, 4                                      // 00000000335C: 923C843C
	s_mul_i32 s61, s5, s74                                     // 000000003360: 923D4A05
	s_add_u32 s61, s61, s60                                    // 000000003364: 803D3C3D
	s_mul_i32 s62, s5, s76                                     // 000000003368: 923E4C05
	s_add_u32 s62, s62, s60                                    // 00000000336C: 803E3C3E
	s_add_u32 s32, s61, s32                                    // 000000003370: 8020203D
	s_addc_u32 s33, 0, s33                                     // 000000003374: 82212180
	s_add_u32 s36, s62, s36                                    // 000000003378: 8024243E
	s_addc_u32 s37, 0, s37                                     // 00000000337C: 82252580
	s_mul_i32 s60, s5, s75                                     // 000000003380: 923C4B05
	s_add_u32 s16, s60, s16                                    // 000000003384: 8010103C
	s_addc_u32 s17, 0, s17                                     // 000000003388: 82111180
	s_mov_b32 s57, 0x100                                       // 00000000338C: BEB900FF 00000100
	s_mov_b32 s58, 0x1000                                      // 000000003394: BEBA00FF 00001000
	s_mov_b32 s79, 0x400                                       // 00000000339C: BECF00FF 00000400
	s_mov_b32 s59, 0x200                                       // 0000000033A4: BEBB00FF 00000200
	s_mov_b32 s90, s58                                         // 0000000033AC: BEDA003A
	s_mov_b32 s52, 0x7060302                                   // 0000000033B0: BEB400FF 07060302
	s_mov_b32 s53, 0x400                                       // 0000000033B8: BEB500FF 00000400
	s_mov_b32 s54, 0x40100                                     // 0000000033C0: BEB600FF 00040100
	s_mov_b32 s55, 0x4020100                                   // 0000000033C8: BEB700FF 04020100
	s_mov_b32 s6, 0x3fb8aa3b                                   // 0000000033D0: BE8600FF 3FB8AA3B
	s_mov_b32 s77, 0xbd92220c                                  // 0000000033D8: BECD00FF BD92220C
	s_mov_b32 m0, s50                                          // 0000000033E0: BEFC0032
	v_mov_b32_e32 v1, 0xbfcc4231                               // 0000000033E4: 7E0202FF BFCC4231
	v_mov_b32_e32 v45, 0xffff0000                              // 0000000033EC: 7E5A02FF FFFF0000
	v_mov_b32_e32 v46, 0x7fff0000                              // 0000000033F4: 7E5C02FF 7FFF0000
	v_mov_b32_e32 v47, 0x7fff                                  // 0000000033FC: 7E5E02FF 00007FFF
	s_waitcnt vmcnt(0) expcnt(0) lgkmcnt(0)                    // 000000003404: BF8C0000
	v_and_b32_e32 v6, 0xffffff, v6                             // 000000003408: 260C0CFF 00FFFFFF
	v_and_b32_e32 v7, 0xffffff, v7                             // 000000003410: 260E0EFF 00FFFFFF
	v_lshlrev_b32_e32 v6, 2, v6                                // 000000003418: 240C0C82
	v_lshlrev_b32_e32 v7, 2, v7                                // 00000000341C: 240E0E82
	buffer_load_dword v14, v6, s[28:31], 0 offen               // 000000003420: E0501000 80070E06
	buffer_load_dword v15, v7, s[28:31], 0 offen               // 000000003428: E0501000 80070F07
	buffer_load_dword v16, v10, s[32:35], 0 offen              // 000000003430: E0501000 8008100A
	buffer_load_dword v17, v11, s[32:35], 0 offen              // 000000003438: E0501000 8008110B
	s_mul_i32 s60, 4, s65                                      // 000000003440: 923C4184
	s_add_u32 s32, s60, s32                                    // 000000003444: 8020203C
	s_addc_u32 s33, 0, s33                                     // 000000003448: 82212180
	buffer_load_dword v48, v10, s[32:35], 0 offen              // 00000000344C: E0501000 8008300A
	buffer_load_dword v49, v11, s[32:35], 0 offen              // 000000003454: E0501000 8008310B
	buffer_load_dword v20, v8, s[40:43], 0 offen               // 00000000345C: E0501000 800A1408
	buffer_load_dword v21, v9, s[40:43], 0 offen               // 000000003464: E0501000 800A1509
	buffer_load_dword v26, s[20:23], 0 offen lds               // 00000000346C: E0511000 8005001A
	s_add_u32 m0, 0x100, s50                                   // 000000003474: 807C32FF 00000100
	buffer_load_dword v27, s[20:23], 0 offen lds               // 00000000347C: E0511000 8005001B
	s_add_u32 m0, 0x200, s50                                   // 000000003484: 807C32FF 00000200
	buffer_load_dword v28, s[20:23], 0 offen lds               // 00000000348C: E0511000 8005001C
	s_add_u32 m0, 0x300, s50                                   // 000000003494: 807C32FF 00000300
	buffer_load_dword v29, s[20:23], 0 offen lds               // 00000000349C: E0511000 8005001D
	s_add_u32 m0, 0x400, s50                                   // 0000000034A4: 807C32FF 00000400
	buffer_load_dword v30, s[20:23], 0 offen lds               // 0000000034AC: E0511000 8005001E
	s_add_u32 m0, 0x500, s50                                   // 0000000034B4: 807C32FF 00000500
	buffer_load_dword v31, s[20:23], 0 offen lds               // 0000000034BC: E0511000 8005001F
	s_add_u32 m0, 0x600, s50                                   // 0000000034C4: 807C32FF 00000600
	buffer_load_dword v32, s[20:23], 0 offen lds               // 0000000034CC: E0511000 80050020
	s_add_u32 m0, 0x700, s50                                   // 0000000034D4: 807C32FF 00000700
	buffer_load_dword v33, s[20:23], 0 offen lds               // 0000000034DC: E0511000 80050021
	s_add_u32 m0, 0, s51                                       // 0000000034E4: 807C3380
	s_add_u32 s20, s57, s20                                    // 0000000034E8: 80141439
	s_addc_u32 s21, 0, s21                                     // 0000000034EC: 82151580
	buffer_load_dwordx4 a[0:3], v34, s[24:27], 0 offen         // 0000000034F0: E05C1000 80860022
	buffer_load_dwordx4 a[4:7], v34, s[24:27], 0 offen offset:1024// 0000000034F8: E05C1400 80860422
	buffer_load_dwordx4 a[8:11], v34, s[24:27], 0 offen offset:2048// 000000003500: E05C1800 80860822
	buffer_load_dwordx4 a[12:15], v34, s[24:27], 0 offen offset:3072// 000000003508: E05C1C00 80860C22
	buffer_load_dwordx4 a[16:19], v35, s[24:27], 0 offen       // 000000003510: E05C1000 80861023
	buffer_load_dwordx4 a[20:23], v35, s[24:27], 0 offen offset:1024// 000000003518: E05C1400 80861423
	buffer_load_dwordx4 a[24:27], v35, s[24:27], 0 offen offset:2048// 000000003520: E05C1800 80861823
	buffer_load_dwordx4 a[28:31], v35, s[24:27], 0 offen offset:3072// 000000003528: E05C1C00 80861C23
	buffer_load_dwordx4 a[32:35], v36, s[24:27], 0 offen       // 000000003530: E05C1000 80862024
	buffer_load_dwordx4 a[36:39], v36, s[24:27], 0 offen offset:1024// 000000003538: E05C1400 80862424
	buffer_load_dwordx4 a[40:43], v36, s[24:27], 0 offen offset:2048// 000000003540: E05C1800 80862824
	buffer_load_dwordx4 a[44:47], v36, s[24:27], 0 offen offset:3072// 000000003548: E05C1C00 80862C24
	buffer_load_dwordx4 a[48:51], v37, s[24:27], 0 offen       // 000000003550: E05C1000 80863025
	buffer_load_dwordx4 a[52:55], v37, s[24:27], 0 offen offset:1024// 000000003558: E05C1400 80863425
	buffer_load_dwordx4 a[56:59], v37, s[24:27], 0 offen offset:2048// 000000003560: E05C1800 80863825
	buffer_load_dwordx4 a[60:63], v37, s[24:27], 0 offen offset:3072// 000000003568: E05C1C00 80863C25
	buffer_load_dwordx4 a[64:67], v38, s[24:27], 0 offen       // 000000003570: E05C1000 80864026
	buffer_load_dwordx4 a[68:71], v38, s[24:27], 0 offen offset:1024// 000000003578: E05C1400 80864426
	buffer_load_dwordx4 a[72:75], v38, s[24:27], 0 offen offset:2048// 000000003580: E05C1800 80864826
	buffer_load_dwordx4 a[76:79], v38, s[24:27], 0 offen offset:3072// 000000003588: E05C1C00 80864C26
	buffer_load_dwordx4 a[80:83], v39, s[24:27], 0 offen       // 000000003590: E05C1000 80865027
	buffer_load_dwordx4 a[84:87], v39, s[24:27], 0 offen offset:1024// 000000003598: E05C1400 80865427
	buffer_load_dwordx4 a[88:91], v39, s[24:27], 0 offen offset:2048// 0000000035A0: E05C1800 80865827
	buffer_load_dwordx4 a[92:95], v39, s[24:27], 0 offen offset:3072// 0000000035A8: E05C1C00 80865C27
	s_add_u32 s24, s58, s24                                    // 0000000035B0: 8018183A
	s_addc_u32 s25, 0, s25                                     // 0000000035B4: 82191980
	v_mov_b32_e32 v128, 0                                      // 0000000035B8: 7F000280
	v_mov_b32_e32 v64, 0                                       // 0000000035BC: 7E800280
	v_mov_b32_e32 v129, 0                                      // 0000000035C0: 7F020280
	v_mov_b32_e32 v65, 0                                       // 0000000035C4: 7E820280
	v_mov_b32_e32 v130, 0                                      // 0000000035C8: 7F040280
	v_mov_b32_e32 v66, 0                                       // 0000000035CC: 7E840280
	v_mov_b32_e32 v131, 0                                      // 0000000035D0: 7F060280
	v_mov_b32_e32 v67, 0                                       // 0000000035D4: 7E860280
	v_mov_b32_e32 v132, 0                                      // 0000000035D8: 7F080280
	v_mov_b32_e32 v68, 0                                       // 0000000035DC: 7E880280
	v_mov_b32_e32 v133, 0                                      // 0000000035E0: 7F0A0280
	v_mov_b32_e32 v69, 0                                       // 0000000035E4: 7E8A0280
	v_mov_b32_e32 v134, 0                                      // 0000000035E8: 7F0C0280
	v_mov_b32_e32 v70, 0                                       // 0000000035EC: 7E8C0280
	v_mov_b32_e32 v135, 0                                      // 0000000035F0: 7F0E0280
	v_mov_b32_e32 v71, 0                                       // 0000000035F4: 7E8E0280
	v_mov_b32_e32 v136, 0                                      // 0000000035F8: 7F100280
	v_mov_b32_e32 v72, 0                                       // 0000000035FC: 7E900280
	v_mov_b32_e32 v137, 0                                      // 000000003600: 7F120280
	v_mov_b32_e32 v73, 0                                       // 000000003604: 7E920280
	v_mov_b32_e32 v138, 0                                      // 000000003608: 7F140280
	v_mov_b32_e32 v74, 0                                       // 00000000360C: 7E940280
	v_mov_b32_e32 v139, 0                                      // 000000003610: 7F160280
	v_mov_b32_e32 v75, 0                                       // 000000003614: 7E960280
	v_mov_b32_e32 v140, 0                                      // 000000003618: 7F180280
	v_mov_b32_e32 v76, 0                                       // 00000000361C: 7E980280
	v_mov_b32_e32 v141, 0                                      // 000000003620: 7F1A0280
	v_mov_b32_e32 v77, 0                                       // 000000003624: 7E9A0280
	v_mov_b32_e32 v142, 0                                      // 000000003628: 7F1C0280
	v_mov_b32_e32 v78, 0                                       // 00000000362C: 7E9C0280
	v_mov_b32_e32 v143, 0                                      // 000000003630: 7F1E0280
	v_mov_b32_e32 v79, 0                                       // 000000003634: 7E9E0280
	v_mov_b32_e32 v144, 0                                      // 000000003638: 7F200280
	v_mov_b32_e32 v80, 0                                       // 00000000363C: 7EA00280
	v_mov_b32_e32 v145, 0                                      // 000000003640: 7F220280
	v_mov_b32_e32 v81, 0                                       // 000000003644: 7EA20280
	v_mov_b32_e32 v146, 0                                      // 000000003648: 7F240280
	v_mov_b32_e32 v82, 0                                       // 00000000364C: 7EA40280
	v_mov_b32_e32 v147, 0                                      // 000000003650: 7F260280
	v_mov_b32_e32 v83, 0                                       // 000000003654: 7EA60280
	v_mov_b32_e32 v148, 0                                      // 000000003658: 7F280280
	v_mov_b32_e32 v84, 0                                       // 00000000365C: 7EA80280
	v_mov_b32_e32 v149, 0                                      // 000000003660: 7F2A0280
	v_mov_b32_e32 v85, 0                                       // 000000003664: 7EAA0280
	v_mov_b32_e32 v150, 0                                      // 000000003668: 7F2C0280
	v_mov_b32_e32 v86, 0                                       // 00000000366C: 7EAC0280
	v_mov_b32_e32 v151, 0                                      // 000000003670: 7F2E0280
	v_mov_b32_e32 v87, 0                                       // 000000003674: 7EAE0280
	v_mov_b32_e32 v152, 0                                      // 000000003678: 7F300280
	v_mov_b32_e32 v88, 0                                       // 00000000367C: 7EB00280
	v_mov_b32_e32 v153, 0                                      // 000000003680: 7F320280
	v_mov_b32_e32 v89, 0                                       // 000000003684: 7EB20280
	v_mov_b32_e32 v154, 0                                      // 000000003688: 7F340280
	v_mov_b32_e32 v90, 0                                       // 00000000368C: 7EB40280
	v_mov_b32_e32 v155, 0                                      // 000000003690: 7F360280
	v_mov_b32_e32 v91, 0                                       // 000000003694: 7EB60280
	v_mov_b32_e32 v156, 0                                      // 000000003698: 7F380280
	v_mov_b32_e32 v92, 0                                       // 00000000369C: 7EB80280
	v_mov_b32_e32 v157, 0                                      // 0000000036A0: 7F3A0280
	v_mov_b32_e32 v93, 0                                       // 0000000036A4: 7EBA0280
	v_mov_b32_e32 v158, 0                                      // 0000000036A8: 7F3C0280
	v_mov_b32_e32 v94, 0                                       // 0000000036AC: 7EBC0280
	v_mov_b32_e32 v159, 0                                      // 0000000036B0: 7F3E0280
	v_mov_b32_e32 v95, 0                                       // 0000000036B4: 7EBE0280
	v_mov_b32_e32 v160, 0                                      // 0000000036B8: 7F400280
	v_mov_b32_e32 v96, 0                                       // 0000000036BC: 7EC00280
	v_mov_b32_e32 v161, 0                                      // 0000000036C0: 7F420280
	v_mov_b32_e32 v97, 0                                       // 0000000036C4: 7EC20280
	v_mov_b32_e32 v162, 0                                      // 0000000036C8: 7F440280
	v_mov_b32_e32 v98, 0                                       // 0000000036CC: 7EC40280
	v_mov_b32_e32 v163, 0                                      // 0000000036D0: 7F460280
	v_mov_b32_e32 v99, 0                                       // 0000000036D4: 7EC60280
	v_mov_b32_e32 v164, 0                                      // 0000000036D8: 7F480280
	v_mov_b32_e32 v100, 0                                      // 0000000036DC: 7EC80280
	v_mov_b32_e32 v165, 0                                      // 0000000036E0: 7F4A0280
	v_mov_b32_e32 v101, 0                                      // 0000000036E4: 7ECA0280
	v_mov_b32_e32 v166, 0                                      // 0000000036E8: 7F4C0280
	v_mov_b32_e32 v102, 0                                      // 0000000036EC: 7ECC0280
	v_mov_b32_e32 v167, 0                                      // 0000000036F0: 7F4E0280
	v_mov_b32_e32 v103, 0                                      // 0000000036F4: 7ECE0280
	v_mov_b32_e32 v168, 0                                      // 0000000036F8: 7F500280
	v_mov_b32_e32 v104, 0                                      // 0000000036FC: 7ED00280
	v_mov_b32_e32 v169, 0                                      // 000000003700: 7F520280
	v_mov_b32_e32 v105, 0                                      // 000000003704: 7ED20280
	v_mov_b32_e32 v170, 0                                      // 000000003708: 7F540280
	v_mov_b32_e32 v106, 0                                      // 00000000370C: 7ED40280
	v_mov_b32_e32 v171, 0                                      // 000000003710: 7F560280
	v_mov_b32_e32 v107, 0                                      // 000000003714: 7ED60280
	v_mov_b32_e32 v172, 0                                      // 000000003718: 7F580280
	v_mov_b32_e32 v108, 0                                      // 00000000371C: 7ED80280
	v_mov_b32_e32 v173, 0                                      // 000000003720: 7F5A0280
	v_mov_b32_e32 v109, 0                                      // 000000003724: 7EDA0280
	v_mov_b32_e32 v174, 0                                      // 000000003728: 7F5C0280
	v_mov_b32_e32 v110, 0                                      // 00000000372C: 7EDC0280
	v_mov_b32_e32 v175, 0                                      // 000000003730: 7F5E0280
	v_mov_b32_e32 v111, 0                                      // 000000003734: 7EDE0280
	v_lshrrev_b32_e32 v50, 4, v0                               // 000000003738: 20640084
	v_mul_i32_i24_e32 v3, 34, v50                              // 00000000373C: 0C0664A2
	v_and_b32_e32 v50, 15, v0                                  // 000000003740: 2664008F
	v_mul_i32_i24_e32 v51, 2, v50                              // 000000003744: 0C666482
	v_add_u32_e32 v3, v51, v3                                  // 000000003748: 68060733
	s_mul_i32 s60, s7, 0x88                                    // 00000000374C: 923CFF07 00000088
	v_add_u32_e32 v3, s60, v3                                  // 000000003754: 6806063C
	v_lshlrev_b32_e32 v3, 2, v3                                // 000000003758: 24060682
	v_lshrrev_b32_e32 v50, 1, v0                               // 00000000375C: 20640081
	v_mul_i32_i24_e32 v4, 34, v50                              // 000000003760: 0C0864A2
	v_and_b32_e32 v51, 1, v0                                   // 000000003764: 26660081
	v_add_u32_e32 v4, v51, v4                                  // 000000003768: 68080933
	s_mul_i32 s60, s7, 2                                       // 00000000376C: 923C8207
	v_add_u32_e32 v4, s60, v4                                  // 000000003770: 6808083C
	v_lshlrev_b32_e32 v4, 2, v4                                // 000000003774: 24080882
	s_waitcnt vmcnt(24)                                        // 000000003778: BF8C4F78
	s_barrier                                                  // 00000000377C: BF8A0000
	ds_read_b128 v[176:179], v2                                // 000000003780: D9FE0000 B0000002
	ds_read_b128 v[180:183], v2 offset:64                      // 000000003788: D9FE0040 B4000002
	ds_read_b128 v[184:187], v2 offset:128                     // 000000003790: D9FE0080 B8000002
	ds_read_b128 v[188:191], v2 offset:192                     // 000000003798: D9FE00C0 BC000002
	ds_read_b128 v[192:195], v2 offset:1024                    // 0000000037A0: D9FE0400 C0000002
	ds_read_b128 v[196:199], v2 offset:1088                    // 0000000037A8: D9FE0440 C4000002
	ds_read_b128 v[200:203], v2 offset:1152                    // 0000000037B0: D9FE0480 C8000002
	ds_read_b128 v[204:207], v2 offset:1216                    // 0000000037B8: D9FE04C0 CC000002
	s_cmp_lt_i32 s7, 2                                         // 0000000037C0: BF048207
	s_cbranch_scc0 label_1121                                  // 0000000037C4: BF840EAF

00000000000037c8 <label_0272>:
	s_waitcnt vmcnt(16) lgkmcnt(0)                             // 0000000037C8: BF8C4070
	s_barrier                                                  // 0000000037CC: BF8A0000
	v_mfma_i32_16x16x32_i8 v[128:131], a[0:1], v[176:177], v[128:131]// 0000000037D0: D3D70080 0E036100
	v_mfma_i32_16x16x32_i8 v[128:131], a[2:3], v[178:179], v[128:131]// 0000000037D8: D3D70080 0E036502
	buffer_load_dwordx4 a[96:99], v34, s[92:95], 0 offen       // 0000000037E0: E05C1000 80976022
	v_mfma_i32_16x16x32_i8 v[128:131], a[4:5], v[180:181], v[128:131]// 0000000037E8: D3D70080 0E036904
	v_mfma_i32_16x16x32_i8 v[128:131], a[6:7], v[182:183], v[128:131]// 0000000037F0: D3D70080 0E036D06
	buffer_load_dword v26, s[20:23], 0 offen lds               // 0000000037F8: E0511000 8005001A
	s_add_u32 m0, 0x100, s51                                   // 000000003800: 807C33FF 00000100
	v_mfma_i32_16x16x32_i8 v[128:131], a[8:9], v[184:185], v[128:131]// 000000003808: D3D70080 0E037108
	v_mfma_i32_16x16x32_i8 v[128:131], a[10:11], v[186:187], v[128:131]// 000000003810: D3D70080 0E03750A
	buffer_load_dwordx4 a[100:103], v34, s[92:95], 0 offen offset:1024// 000000003818: E05C1400 80976422
	v_mfma_i32_16x16x32_i8 v[128:131], a[12:13], v[188:189], v[128:131]// 000000003820: D3D70080 0E03790C
	v_mfma_i32_16x16x32_i8 v[128:131], a[14:15], v[190:191], v[128:131]// 000000003828: D3D70080 0E037D0E
	buffer_load_dword v27, s[20:23], 0 offen lds               // 000000003830: E0511000 8005001B
	s_add_u32 m0, 0x200, s51                                   // 000000003838: 807C33FF 00000200
	v_mfma_i32_16x16x32_i8 v[132:135], a[0:1], v[192:193], v[132:135]// 000000003840: D3D70084 0E138100
	v_mfma_i32_16x16x32_i8 v[132:135], a[2:3], v[194:195], v[132:135]// 000000003848: D3D70084 0E138502
	buffer_load_dwordx4 a[104:107], v34, s[92:95], 0 offen offset:2048// 000000003850: E05C1800 80976822
	v_mfma_i32_16x16x32_i8 v[132:135], a[4:5], v[196:197], v[132:135]// 000000003858: D3D70084 0E138904
	v_mfma_i32_16x16x32_i8 v[132:135], a[6:7], v[198:199], v[132:135]// 000000003860: D3D70084 0E138D06
	buffer_load_dword v28, s[20:23], 0 offen lds               // 000000003868: E0511000 8005001C
	s_add_u32 m0, 0x300, s51                                   // 000000003870: 807C33FF 00000300
	v_mfma_i32_16x16x32_i8 v[132:135], a[8:9], v[200:201], v[132:135]// 000000003878: D3D70084 0E139108
	v_mfma_i32_16x16x32_i8 v[132:135], a[10:11], v[202:203], v[132:135]// 000000003880: D3D70084 0E13950A
	buffer_load_dwordx4 a[108:111], v34, s[92:95], 0 offen offset:3072// 000000003888: E05C1C00 80976C22
	v_mfma_i32_16x16x32_i8 v[132:135], a[12:13], v[204:205], v[132:135]// 000000003890: D3D70084 0E13990C
	v_mfma_i32_16x16x32_i8 v[132:135], a[14:15], v[206:207], v[132:135]// 000000003898: D3D70084 0E139D0E
	buffer_load_dword v29, s[20:23], 0 offen lds               // 0000000038A0: E0511000 8005001D
	s_add_u32 m0, 0x400, s51                                   // 0000000038A8: 807C33FF 00000400
	v_mfma_i32_16x16x32_i8 v[136:139], a[16:17], v[176:177], v[136:139]// 0000000038B0: D3D70088 0E236110
	v_mfma_i32_16x16x32_i8 v[136:139], a[18:19], v[178:179], v[136:139]// 0000000038B8: D3D70088 0E236512
	buffer_load_dwordx4 a[112:115], v35, s[92:95], 0 offen     // 0000000038C0: E05C1000 80977023
	v_mfma_i32_16x16x32_i8 v[136:139], a[20:21], v[180:181], v[136:139]// 0000000038C8: D3D70088 0E236914
	v_mfma_i32_16x16x32_i8 v[136:139], a[22:23], v[182:183], v[136:139]// 0000000038D0: D3D70088 0E236D16
	buffer_load_dword v30, s[20:23], 0 offen lds               // 0000000038D8: E0511000 8005001E
	s_add_u32 m0, 0x500, s51                                   // 0000000038E0: 807C33FF 00000500
	v_mfma_i32_16x16x32_i8 v[136:139], a[24:25], v[184:185], v[136:139]// 0000000038E8: D3D70088 0E237118
	v_mfma_i32_16x16x32_i8 v[136:139], a[26:27], v[186:187], v[136:139]// 0000000038F0: D3D70088 0E23751A
	buffer_load_dwordx4 a[116:119], v35, s[92:95], 0 offen offset:1024// 0000000038F8: E05C1400 80977423
	v_mfma_i32_16x16x32_i8 v[136:139], a[28:29], v[188:189], v[136:139]// 000000003900: D3D70088 0E23791C
	v_mfma_i32_16x16x32_i8 v[136:139], a[30:31], v[190:191], v[136:139]// 000000003908: D3D70088 0E237D1E
	buffer_load_dword v31, s[20:23], 0 offen lds               // 000000003910: E0511000 8005001F
	s_add_u32 m0, 0x600, s51                                   // 000000003918: 807C33FF 00000600
	v_mfma_i32_16x16x32_i8 v[140:143], a[16:17], v[192:193], v[140:143]// 000000003920: D3D7008C 0E338110
	v_mfma_i32_16x16x32_i8 v[140:143], a[18:19], v[194:195], v[140:143]// 000000003928: D3D7008C 0E338512
	buffer_load_dwordx4 a[120:123], v35, s[92:95], 0 offen offset:2048// 000000003930: E05C1800 80977823
	v_mfma_i32_16x16x32_i8 v[140:143], a[20:21], v[196:197], v[140:143]// 000000003938: D3D7008C 0E338914
	v_mfma_i32_16x16x32_i8 v[140:143], a[22:23], v[198:199], v[140:143]// 000000003940: D3D7008C 0E338D16
	buffer_load_dword v32, s[20:23], 0 offen lds               // 000000003948: E0511000 80050020
	s_add_u32 m0, 0x700, s51                                   // 000000003950: 807C33FF 00000700
	v_mfma_i32_16x16x32_i8 v[140:143], a[24:25], v[200:201], v[140:143]// 000000003958: D3D7008C 0E339118
	v_mfma_i32_16x16x32_i8 v[140:143], a[26:27], v[202:203], v[140:143]// 000000003960: D3D7008C 0E33951A
	buffer_load_dwordx4 a[124:127], v35, s[92:95], 0 offen offset:3072// 000000003968: E05C1C00 80977C23
	v_mfma_i32_16x16x32_i8 v[140:143], a[28:29], v[204:205], v[140:143]// 000000003970: D3D7008C 0E33991C
	v_mfma_i32_16x16x32_i8 v[140:143], a[30:31], v[206:207], v[140:143]// 000000003978: D3D7008C 0E339D1E
	buffer_load_dword v33, s[20:23], 0 offen lds               // 000000003980: E0511000 80050021
	s_add_u32 m0, 0, s50                                       // 000000003988: 807C3280
	s_waitcnt vmcnt(28)                                        // 00000000398C: BF8C4F7C
	v_mfma_i32_16x16x32_i8 v[144:147], a[32:33], v[176:177], v[144:147]// 000000003990: D3D70090 0E436120
	v_mfma_i32_16x16x32_i8 v[144:147], a[34:35], v[178:179], v[144:147]// 000000003998: D3D70090 0E436522
	buffer_load_dwordx4 a[128:131], v36, s[92:95], 0 offen     // 0000000039A0: E05C1000 80978024
	v_mfma_i32_16x16x32_i8 v[144:147], a[36:37], v[180:181], v[144:147]// 0000000039A8: D3D70090 0E436924
	v_mfma_i32_16x16x32_i8 v[144:147], a[38:39], v[182:183], v[144:147]// 0000000039B0: D3D70090 0E436D26
	v_mfma_i32_16x16x32_i8 v[144:147], a[40:41], v[184:185], v[144:147]// 0000000039B8: D3D70090 0E437128
	v_mfma_i32_16x16x32_i8 v[144:147], a[42:43], v[186:187], v[144:147]// 0000000039C0: D3D70090 0E43752A
	buffer_load_dwordx4 a[132:135], v36, s[92:95], 0 offen offset:1024// 0000000039C8: E05C1400 80978424
	v_mfma_i32_16x16x32_i8 v[144:147], a[44:45], v[188:189], v[144:147]// 0000000039D0: D3D70090 0E43792C
	v_mfma_i32_16x16x32_i8 v[144:147], a[46:47], v[190:191], v[144:147]// 0000000039D8: D3D70090 0E437D2E
	v_mfma_i32_16x16x32_i8 v[148:151], a[32:33], v[192:193], v[148:151]// 0000000039E0: D3D70094 0E538120
	v_mfma_i32_16x16x32_i8 v[148:151], a[34:35], v[194:195], v[148:151]// 0000000039E8: D3D70094 0E538522
	buffer_load_dwordx4 a[136:139], v36, s[92:95], 0 offen offset:2048// 0000000039F0: E05C1800 80978824
	v_mfma_i32_16x16x32_i8 v[148:151], a[36:37], v[196:197], v[148:151]// 0000000039F8: D3D70094 0E538924
	v_mfma_i32_16x16x32_i8 v[148:151], a[38:39], v[198:199], v[148:151]// 000000003A00: D3D70094 0E538D26
	v_mfma_i32_16x16x32_i8 v[148:151], a[40:41], v[200:201], v[148:151]// 000000003A08: D3D70094 0E539128
	v_mfma_i32_16x16x32_i8 v[148:151], a[42:43], v[202:203], v[148:151]// 000000003A10: D3D70094 0E53952A
	buffer_load_dwordx4 a[140:143], v36, s[92:95], 0 offen offset:3072// 000000003A18: E05C1C00 80978C24
	v_mfma_i32_16x16x32_i8 v[148:151], a[44:45], v[204:205], v[148:151]// 000000003A20: D3D70094 0E53992C
	v_mfma_i32_16x16x32_i8 v[148:151], a[46:47], v[206:207], v[148:151]// 000000003A28: D3D70094 0E539D2E
	s_waitcnt vmcnt(28)                                        // 000000003A30: BF8C4F7C
	v_mfma_i32_16x16x32_i8 v[152:155], a[48:49], v[176:177], v[152:155]// 000000003A34: D3D70098 0E636130
	v_mfma_i32_16x16x32_i8 v[152:155], a[50:51], v[178:179], v[152:155]// 000000003A3C: D3D70098 0E636532
	buffer_load_dwordx4 a[144:147], v37, s[92:95], 0 offen     // 000000003A44: E05C1000 80979025
	v_mfma_i32_16x16x32_i8 v[152:155], a[52:53], v[180:181], v[152:155]// 000000003A4C: D3D70098 0E636934
	v_mfma_i32_16x16x32_i8 v[152:155], a[54:55], v[182:183], v[152:155]// 000000003A54: D3D70098 0E636D36
	v_mfma_i32_16x16x32_i8 v[152:155], a[56:57], v[184:185], v[152:155]// 000000003A5C: D3D70098 0E637138
	v_mfma_i32_16x16x32_i8 v[152:155], a[58:59], v[186:187], v[152:155]// 000000003A64: D3D70098 0E63753A
	buffer_load_dwordx4 a[148:151], v37, s[92:95], 0 offen offset:1024// 000000003A6C: E05C1400 80979425
	v_mfma_i32_16x16x32_i8 v[152:155], a[60:61], v[188:189], v[152:155]// 000000003A74: D3D70098 0E63793C
	v_mfma_i32_16x16x32_i8 v[152:155], a[62:63], v[190:191], v[152:155]// 000000003A7C: D3D70098 0E637D3E
	v_mfma_i32_16x16x32_i8 v[156:159], a[48:49], v[192:193], v[156:159]// 000000003A84: D3D7009C 0E738130
	v_mfma_i32_16x16x32_i8 v[156:159], a[50:51], v[194:195], v[156:159]// 000000003A8C: D3D7009C 0E738532
	buffer_load_dwordx4 a[152:155], v37, s[92:95], 0 offen offset:2048// 000000003A94: E05C1800 80979825
	v_mfma_i32_16x16x32_i8 v[156:159], a[52:53], v[196:197], v[156:159]// 000000003A9C: D3D7009C 0E738934
	v_mfma_i32_16x16x32_i8 v[156:159], a[54:55], v[198:199], v[156:159]// 000000003AA4: D3D7009C 0E738D36
	v_mfma_i32_16x16x32_i8 v[156:159], a[56:57], v[200:201], v[156:159]// 000000003AAC: D3D7009C 0E739138
	v_mfma_i32_16x16x32_i8 v[156:159], a[58:59], v[202:203], v[156:159]// 000000003AB4: D3D7009C 0E73953A
	buffer_load_dwordx4 a[156:159], v37, s[92:95], 0 offen offset:3072// 000000003ABC: E05C1C00 80979C25
	v_mfma_i32_16x16x32_i8 v[156:159], a[60:61], v[204:205], v[156:159]// 000000003AC4: D3D7009C 0E73993C
	v_mfma_i32_16x16x32_i8 v[156:159], a[62:63], v[206:207], v[156:159]// 000000003ACC: D3D7009C 0E739D3E
	s_waitcnt vmcnt(28)                                        // 000000003AD4: BF8C4F7C
	v_mfma_i32_16x16x32_i8 v[160:163], a[64:65], v[176:177], v[160:163]// 000000003AD8: D3D700A0 0E836140
	v_mfma_i32_16x16x32_i8 v[160:163], a[66:67], v[178:179], v[160:163]// 000000003AE0: D3D700A0 0E836542
	buffer_load_dwordx4 a[160:163], v38, s[92:95], 0 offen     // 000000003AE8: E05C1000 8097A026
	v_mfma_i32_16x16x32_i8 v[160:163], a[68:69], v[180:181], v[160:163]// 000000003AF0: D3D700A0 0E836944
	v_mfma_i32_16x16x32_i8 v[160:163], a[70:71], v[182:183], v[160:163]// 000000003AF8: D3D700A0 0E836D46
	v_mfma_i32_16x16x32_i8 v[160:163], a[72:73], v[184:185], v[160:163]// 000000003B00: D3D700A0 0E837148
	v_mfma_i32_16x16x32_i8 v[160:163], a[74:75], v[186:187], v[160:163]// 000000003B08: D3D700A0 0E83754A
	buffer_load_dwordx4 a[164:167], v38, s[92:95], 0 offen offset:1024// 000000003B10: E05C1400 8097A426
	v_mfma_i32_16x16x32_i8 v[160:163], a[76:77], v[188:189], v[160:163]// 000000003B18: D3D700A0 0E83794C
	v_mfma_i32_16x16x32_i8 v[160:163], a[78:79], v[190:191], v[160:163]// 000000003B20: D3D700A0 0E837D4E
	v_mfma_i32_16x16x32_i8 v[164:167], a[64:65], v[192:193], v[164:167]// 000000003B28: D3D700A4 0E938140
	v_mfma_i32_16x16x32_i8 v[164:167], a[66:67], v[194:195], v[164:167]// 000000003B30: D3D700A4 0E938542
	buffer_load_dwordx4 a[168:171], v38, s[92:95], 0 offen offset:2048// 000000003B38: E05C1800 8097A826
	v_mfma_i32_16x16x32_i8 v[164:167], a[68:69], v[196:197], v[164:167]// 000000003B40: D3D700A4 0E938944
	v_mfma_i32_16x16x32_i8 v[164:167], a[70:71], v[198:199], v[164:167]// 000000003B48: D3D700A4 0E938D46
	v_mfma_i32_16x16x32_i8 v[164:167], a[72:73], v[200:201], v[164:167]// 000000003B50: D3D700A4 0E939148
	v_mfma_i32_16x16x32_i8 v[164:167], a[74:75], v[202:203], v[164:167]// 000000003B58: D3D700A4 0E93954A
	buffer_load_dwordx4 a[172:175], v38, s[92:95], 0 offen offset:3072// 000000003B60: E05C1C00 8097AC26
	v_mfma_i32_16x16x32_i8 v[164:167], a[76:77], v[204:205], v[164:167]// 000000003B68: D3D700A4 0E93994C
	v_mfma_i32_16x16x32_i8 v[164:167], a[78:79], v[206:207], v[164:167]// 000000003B70: D3D700A4 0E939D4E
	s_waitcnt vmcnt(28)                                        // 000000003B78: BF8C4F7C
	v_mfma_i32_16x16x32_i8 v[168:171], a[80:81], v[176:177], v[168:171]// 000000003B7C: D3D700A8 0EA36150
	v_mfma_i32_16x16x32_i8 v[168:171], a[82:83], v[178:179], v[168:171]// 000000003B84: D3D700A8 0EA36552
	buffer_load_dwordx4 a[176:179], v39, s[92:95], 0 offen     // 000000003B8C: E05C1000 8097B027
	v_mfma_i32_16x16x32_i8 v[168:171], a[84:85], v[180:181], v[168:171]// 000000003B94: D3D700A8 0EA36954
	v_mfma_i32_16x16x32_i8 v[168:171], a[86:87], v[182:183], v[168:171]// 000000003B9C: D3D700A8 0EA36D56
	v_mfma_i32_16x16x32_i8 v[168:171], a[88:89], v[184:185], v[168:171]// 000000003BA4: D3D700A8 0EA37158
	v_mfma_i32_16x16x32_i8 v[168:171], a[90:91], v[186:187], v[168:171]// 000000003BAC: D3D700A8 0EA3755A
	buffer_load_dwordx4 a[180:183], v39, s[92:95], 0 offen offset:1024// 000000003BB4: E05C1400 8097B427
	v_mfma_i32_16x16x32_i8 v[168:171], a[92:93], v[188:189], v[168:171]// 000000003BBC: D3D700A8 0EA3795C
	v_mfma_i32_16x16x32_i8 v[168:171], a[94:95], v[190:191], v[168:171]// 000000003BC4: D3D700A8 0EA37D5E
	v_mfma_i32_16x16x32_i8 v[172:175], a[80:81], v[192:193], v[172:175]// 000000003BCC: D3D700AC 0EB38150
	v_mfma_i32_16x16x32_i8 v[172:175], a[82:83], v[194:195], v[172:175]// 000000003BD4: D3D700AC 0EB38552
	buffer_load_dwordx4 a[184:187], v39, s[92:95], 0 offen offset:2048// 000000003BDC: E05C1800 8097B827
	v_mfma_i32_16x16x32_i8 v[172:175], a[84:85], v[196:197], v[172:175]// 000000003BE4: D3D700AC 0EB38954
	v_mfma_i32_16x16x32_i8 v[172:175], a[86:87], v[198:199], v[172:175]// 000000003BEC: D3D700AC 0EB38D56
	v_mfma_i32_16x16x32_i8 v[172:175], a[88:89], v[200:201], v[172:175]// 000000003BF4: D3D700AC 0EB39158
	v_mfma_i32_16x16x32_i8 v[172:175], a[90:91], v[202:203], v[172:175]// 000000003BFC: D3D700AC 0EB3955A
	buffer_load_dwordx4 a[188:191], v39, s[92:95], 0 offen offset:3072// 000000003C04: E05C1C00 8097BC27
	v_mfma_i32_16x16x32_i8 v[172:175], a[92:93], v[204:205], v[172:175]// 000000003C0C: D3D700AC 0EB3995C
	v_mfma_i32_16x16x32_i8 v[172:175], a[94:95], v[206:207], v[172:175]// 000000003C14: D3D700AC 0EB39D5E
	s_waitcnt vmcnt(16)                                        // 000000003C1C: BF8C4F70
	s_barrier                                                  // 000000003C20: BF8A0000
	v_mfma_i32_16x16x32_i8 v[64:67], a[96:97], v[176:177], v[64:67]// 000000003C24: D3D70040 0D036160
	v_mfma_i32_16x16x32_i8 v[64:67], a[98:99], v[178:179], v[64:67]// 000000003C2C: D3D70040 0D036562
	buffer_load_dwordx4 a[0:3], v34, s[24:27], 0 offen         // 000000003C34: E05C1000 80860022
	v_mfma_i32_16x16x32_i8 v[64:67], a[100:101], v[180:181], v[64:67]// 000000003C3C: D3D70040 0D036964
	v_mfma_i32_16x16x32_i8 v[64:67], a[102:103], v[182:183], v[64:67]// 000000003C44: D3D70040 0D036D66
	v_mfma_i32_16x16x32_i8 v[64:67], a[104:105], v[184:185], v[64:67]// 000000003C4C: D3D70040 0D037168
	v_mfma_i32_16x16x32_i8 v[64:67], a[106:107], v[186:187], v[64:67]// 000000003C54: D3D70040 0D03756A
	buffer_load_dwordx4 a[4:7], v34, s[24:27], 0 offen offset:1024// 000000003C5C: E05C1400 80860422
	v_mfma_i32_16x16x32_i8 v[64:67], a[108:109], v[188:189], v[64:67]// 000000003C64: D3D70040 0D03796C
	v_mfma_i32_16x16x32_i8 v[64:67], a[110:111], v[190:191], v[64:67]// 000000003C6C: D3D70040 0D037D6E
	v_mfma_i32_16x16x32_i8 v[68:71], a[96:97], v[192:193], v[68:71]// 000000003C74: D3D70044 0D138160
	v_mfma_i32_16x16x32_i8 v[68:71], a[98:99], v[194:195], v[68:71]// 000000003C7C: D3D70044 0D138562
	buffer_load_dwordx4 a[8:11], v34, s[24:27], 0 offen offset:2048// 000000003C84: E05C1800 80860822
	v_mfma_i32_16x16x32_i8 v[68:71], a[100:101], v[196:197], v[68:71]// 000000003C8C: D3D70044 0D138964
	v_mfma_i32_16x16x32_i8 v[68:71], a[102:103], v[198:199], v[68:71]// 000000003C94: D3D70044 0D138D66
	v_mfma_i32_16x16x32_i8 v[68:71], a[104:105], v[200:201], v[68:71]// 000000003C9C: D3D70044 0D139168
	v_mfma_i32_16x16x32_i8 v[68:71], a[106:107], v[202:203], v[68:71]// 000000003CA4: D3D70044 0D13956A
	buffer_load_dwordx4 a[12:15], v34, s[24:27], 0 offen offset:3072// 000000003CAC: E05C1C00 80860C22
	v_mfma_i32_16x16x32_i8 v[68:71], a[108:109], v[204:205], v[68:71]// 000000003CB4: D3D70044 0D13996C
	v_mfma_i32_16x16x32_i8 v[68:71], a[110:111], v[206:207], v[68:71]// 000000003CBC: D3D70044 0D139D6E
	v_mfma_i32_16x16x32_i8 v[72:75], a[112:113], v[176:177], v[72:75]// 000000003CC4: D3D70048 0D236170
	v_mfma_i32_16x16x32_i8 v[72:75], a[114:115], v[178:179], v[72:75]// 000000003CCC: D3D70048 0D236572
	buffer_load_dwordx4 a[16:19], v35, s[24:27], 0 offen       // 000000003CD4: E05C1000 80861023
	v_mfma_i32_16x16x32_i8 v[72:75], a[116:117], v[180:181], v[72:75]// 000000003CDC: D3D70048 0D236974
	v_mfma_i32_16x16x32_i8 v[72:75], a[118:119], v[182:183], v[72:75]// 000000003CE4: D3D70048 0D236D76
	v_mfma_i32_16x16x32_i8 v[72:75], a[120:121], v[184:185], v[72:75]// 000000003CEC: D3D70048 0D237178
	v_mfma_i32_16x16x32_i8 v[72:75], a[122:123], v[186:187], v[72:75]// 000000003CF4: D3D70048 0D23757A
	buffer_load_dwordx4 a[20:23], v35, s[24:27], 0 offen offset:1024// 000000003CFC: E05C1400 80861423
	v_mfma_i32_16x16x32_i8 v[72:75], a[124:125], v[188:189], v[72:75]// 000000003D04: D3D70048 0D23797C
	v_mfma_i32_16x16x32_i8 v[72:75], a[126:127], v[190:191], v[72:75]// 000000003D0C: D3D70048 0D237D7E
	v_mfma_i32_16x16x32_i8 v[76:79], a[112:113], v[192:193], v[76:79]// 000000003D14: D3D7004C 0D338170
	v_mfma_i32_16x16x32_i8 v[76:79], a[114:115], v[194:195], v[76:79]// 000000003D1C: D3D7004C 0D338572
	buffer_load_dwordx4 a[24:27], v35, s[24:27], 0 offen offset:2048// 000000003D24: E05C1800 80861823
	v_mfma_i32_16x16x32_i8 v[76:79], a[116:117], v[196:197], v[76:79]// 000000003D2C: D3D7004C 0D338974
	v_mfma_i32_16x16x32_i8 v[76:79], a[118:119], v[198:199], v[76:79]// 000000003D34: D3D7004C 0D338D76
	v_mfma_i32_16x16x32_i8 v[76:79], a[120:121], v[200:201], v[76:79]// 000000003D3C: D3D7004C 0D339178
	v_mfma_i32_16x16x32_i8 v[76:79], a[122:123], v[202:203], v[76:79]// 000000003D44: D3D7004C 0D33957A
	buffer_load_dwordx4 a[28:31], v35, s[24:27], 0 offen offset:3072// 000000003D4C: E05C1C00 80861C23
	v_mfma_i32_16x16x32_i8 v[76:79], a[124:125], v[204:205], v[76:79]// 000000003D54: D3D7004C 0D33997C
	v_mfma_i32_16x16x32_i8 v[76:79], a[126:127], v[206:207], v[76:79]// 000000003D5C: D3D7004C 0D339D7E
	s_waitcnt vmcnt(20)                                        // 000000003D64: BF8C4F74
	v_mfma_i32_16x16x32_i8 v[80:83], a[128:129], v[176:177], v[80:83]// 000000003D68: D3D70050 0D436180
	v_mfma_i32_16x16x32_i8 v[80:83], a[130:131], v[178:179], v[80:83]// 000000003D70: D3D70050 0D436582
	buffer_load_dwordx4 a[32:35], v36, s[24:27], 0 offen       // 000000003D78: E05C1000 80862024
	v_mfma_i32_16x16x32_i8 v[80:83], a[132:133], v[180:181], v[80:83]// 000000003D80: D3D70050 0D436984
	v_mfma_i32_16x16x32_i8 v[80:83], a[134:135], v[182:183], v[80:83]// 000000003D88: D3D70050 0D436D86
	ds_read_b128 v[208:211], v2 offset:8320                    // 000000003D90: D9FE2080 D0000002
	v_mfma_i32_16x16x32_i8 v[80:83], a[136:137], v[184:185], v[80:83]// 000000003D98: D3D70050 0D437188
	v_mfma_i32_16x16x32_i8 v[80:83], a[138:139], v[186:187], v[80:83]// 000000003DA0: D3D70050 0D43758A
	buffer_load_dwordx4 a[36:39], v36, s[24:27], 0 offen offset:1024// 000000003DA8: E05C1400 80862424
	v_mfma_i32_16x16x32_i8 v[80:83], a[140:141], v[188:189], v[80:83]// 000000003DB0: D3D70050 0D43798C
	v_mfma_i32_16x16x32_i8 v[80:83], a[142:143], v[190:191], v[80:83]// 000000003DB8: D3D70050 0D437D8E
	ds_read_b128 v[212:215], v2 offset:8384                    // 000000003DC0: D9FE20C0 D4000002
	v_mfma_i32_16x16x32_i8 v[84:87], a[128:129], v[192:193], v[84:87]// 000000003DC8: D3D70054 0D538180
	v_mfma_i32_16x16x32_i8 v[84:87], a[130:131], v[194:195], v[84:87]// 000000003DD0: D3D70054 0D538582
	buffer_load_dwordx4 a[40:43], v36, s[24:27], 0 offen offset:2048// 000000003DD8: E05C1800 80862824
	v_mfma_i32_16x16x32_i8 v[84:87], a[132:133], v[196:197], v[84:87]// 000000003DE0: D3D70054 0D538984
	v_mfma_i32_16x16x32_i8 v[84:87], a[134:135], v[198:199], v[84:87]// 000000003DE8: D3D70054 0D538D86
	ds_read_b128 v[216:219], v2 offset:8448                    // 000000003DF0: D9FE2100 D8000002
	v_mfma_i32_16x16x32_i8 v[84:87], a[136:137], v[200:201], v[84:87]// 000000003DF8: D3D70054 0D539188
	v_mfma_i32_16x16x32_i8 v[84:87], a[138:139], v[202:203], v[84:87]// 000000003E00: D3D70054 0D53958A
	buffer_load_dwordx4 a[44:47], v36, s[24:27], 0 offen offset:3072// 000000003E08: E05C1C00 80862C24
	v_mfma_i32_16x16x32_i8 v[84:87], a[140:141], v[204:205], v[84:87]// 000000003E10: D3D70054 0D53998C
	v_mfma_i32_16x16x32_i8 v[84:87], a[142:143], v[206:207], v[84:87]// 000000003E18: D3D70054 0D539D8E
	ds_read_b128 v[220:223], v2 offset:8512                    // 000000003E20: D9FE2140 DC000002
	s_waitcnt vmcnt(20)                                        // 000000003E28: BF8C4F74
	v_mfma_i32_16x16x32_i8 v[88:91], a[144:145], v[176:177], v[88:91]// 000000003E2C: D3D70058 0D636190
	v_mfma_i32_16x16x32_i8 v[88:91], a[146:147], v[178:179], v[88:91]// 000000003E34: D3D70058 0D636592
	buffer_load_dwordx4 a[48:51], v37, s[24:27], 0 offen       // 000000003E3C: E05C1000 80863025
	v_mfma_i32_16x16x32_i8 v[88:91], a[148:149], v[180:181], v[88:91]// 000000003E44: D3D70058 0D636994
	v_mfma_i32_16x16x32_i8 v[88:91], a[150:151], v[182:183], v[88:91]// 000000003E4C: D3D70058 0D636D96
	ds_read_b128 v[224:227], v2 offset:9344                    // 000000003E54: D9FE2480 E0000002
	v_mfma_i32_16x16x32_i8 v[88:91], a[152:153], v[184:185], v[88:91]// 000000003E5C: D3D70058 0D637198
	v_mfma_i32_16x16x32_i8 v[88:91], a[154:155], v[186:187], v[88:91]// 000000003E64: D3D70058 0D63759A
	buffer_load_dwordx4 a[52:55], v37, s[24:27], 0 offen offset:1024// 000000003E6C: E05C1400 80863425
	v_mfma_i32_16x16x32_i8 v[88:91], a[156:157], v[188:189], v[88:91]// 000000003E74: D3D70058 0D63799C
	v_mfma_i32_16x16x32_i8 v[88:91], a[158:159], v[190:191], v[88:91]// 000000003E7C: D3D70058 0D637D9E
	ds_read_b128 v[228:231], v2 offset:9408                    // 000000003E84: D9FE24C0 E4000002
	v_mfma_i32_16x16x32_i8 v[92:95], a[144:145], v[192:193], v[92:95]// 000000003E8C: D3D7005C 0D738190
	v_mfma_i32_16x16x32_i8 v[92:95], a[146:147], v[194:195], v[92:95]// 000000003E94: D3D7005C 0D738592
	buffer_load_dwordx4 a[56:59], v37, s[24:27], 0 offen offset:2048// 000000003E9C: E05C1800 80863825
	v_mfma_i32_16x16x32_i8 v[92:95], a[148:149], v[196:197], v[92:95]// 000000003EA4: D3D7005C 0D738994
	v_mfma_i32_16x16x32_i8 v[92:95], a[150:151], v[198:199], v[92:95]// 000000003EAC: D3D7005C 0D738D96
	ds_read_b128 v[232:235], v2 offset:9472                    // 000000003EB4: D9FE2500 E8000002
	v_mfma_i32_16x16x32_i8 v[92:95], a[152:153], v[200:201], v[92:95]// 000000003EBC: D3D7005C 0D739198
	v_mfma_i32_16x16x32_i8 v[92:95], a[154:155], v[202:203], v[92:95]// 000000003EC4: D3D7005C 0D73959A
	buffer_load_dwordx4 a[60:63], v37, s[24:27], 0 offen offset:3072// 000000003ECC: E05C1C00 80863C25
	v_mfma_i32_16x16x32_i8 v[92:95], a[156:157], v[204:205], v[92:95]// 000000003ED4: D3D7005C 0D73999C
	v_mfma_i32_16x16x32_i8 v[92:95], a[158:159], v[206:207], v[92:95]// 000000003EDC: D3D7005C 0D739D9E
	ds_read_b128 v[236:239], v2 offset:9536                    // 000000003EE4: D9FE2540 EC000002
	s_waitcnt vmcnt(20)                                        // 000000003EEC: BF8C4F74
	v_mfma_i32_16x16x32_i8 v[96:99], a[160:161], v[176:177], v[96:99]// 000000003EF0: D3D70060 0D8361A0
	v_mfma_i32_16x16x32_i8 v[96:99], a[162:163], v[178:179], v[96:99]// 000000003EF8: D3D70060 0D8365A2
	buffer_load_dwordx4 a[64:67], v38, s[24:27], 0 offen       // 000000003F00: E05C1000 80864026
	v_mfma_i32_16x16x32_i8 v[96:99], a[164:165], v[180:181], v[96:99]// 000000003F08: D3D70060 0D8369A4
	v_mfma_i32_16x16x32_i8 v[96:99], a[166:167], v[182:183], v[96:99]// 000000003F10: D3D70060 0D836DA6
	v_mfma_i32_16x16x32_i8 v[96:99], a[168:169], v[184:185], v[96:99]// 000000003F18: D3D70060 0D8371A8
	v_mfma_i32_16x16x32_i8 v[96:99], a[170:171], v[186:187], v[96:99]// 000000003F20: D3D70060 0D8375AA
	buffer_load_dwordx4 a[68:71], v38, s[24:27], 0 offen offset:1024// 000000003F28: E05C1400 80864426
	v_mfma_i32_16x16x32_i8 v[96:99], a[172:173], v[188:189], v[96:99]// 000000003F30: D3D70060 0D8379AC
	v_mfma_i32_16x16x32_i8 v[96:99], a[174:175], v[190:191], v[96:99]// 000000003F38: D3D70060 0D837DAE
	v_mfma_i32_16x16x32_i8 v[100:103], a[160:161], v[192:193], v[100:103]// 000000003F40: D3D70064 0D9381A0
	v_mfma_i32_16x16x32_i8 v[100:103], a[162:163], v[194:195], v[100:103]// 000000003F48: D3D70064 0D9385A2
	buffer_load_dwordx4 a[72:75], v38, s[24:27], 0 offen offset:2048// 000000003F50: E05C1800 80864826
	v_mfma_i32_16x16x32_i8 v[100:103], a[164:165], v[196:197], v[100:103]// 000000003F58: D3D70064 0D9389A4
	v_mfma_i32_16x16x32_i8 v[100:103], a[166:167], v[198:199], v[100:103]// 000000003F60: D3D70064 0D938DA6
	v_mfma_i32_16x16x32_i8 v[100:103], a[168:169], v[200:201], v[100:103]// 000000003F68: D3D70064 0D9391A8
	v_mfma_i32_16x16x32_i8 v[100:103], a[170:171], v[202:203], v[100:103]// 000000003F70: D3D70064 0D9395AA
	buffer_load_dwordx4 a[76:79], v38, s[24:27], 0 offen offset:3072// 000000003F78: E05C1C00 80864C26
	v_mfma_i32_16x16x32_i8 v[100:103], a[172:173], v[204:205], v[100:103]// 000000003F80: D3D70064 0D9399AC
	v_mfma_i32_16x16x32_i8 v[100:103], a[174:175], v[206:207], v[100:103]// 000000003F88: D3D70064 0D939DAE
	s_waitcnt vmcnt(20)                                        // 000000003F90: BF8C4F74
	v_mfma_i32_16x16x32_i8 v[104:107], a[176:177], v[176:177], v[104:107]// 000000003F94: D3D70068 0DA361B0
	v_mfma_i32_16x16x32_i8 v[104:107], a[178:179], v[178:179], v[104:107]// 000000003F9C: D3D70068 0DA365B2
	buffer_load_dwordx4 a[80:83], v39, s[24:27], 0 offen       // 000000003FA4: E05C1000 80865027
	v_mfma_i32_16x16x32_i8 v[104:107], a[180:181], v[180:181], v[104:107]// 000000003FAC: D3D70068 0DA369B4
	v_mfma_i32_16x16x32_i8 v[104:107], a[182:183], v[182:183], v[104:107]// 000000003FB4: D3D70068 0DA36DB6
	v_mfma_i32_16x16x32_i8 v[104:107], a[184:185], v[184:185], v[104:107]// 000000003FBC: D3D70068 0DA371B8
	v_mfma_i32_16x16x32_i8 v[104:107], a[186:187], v[186:187], v[104:107]// 000000003FC4: D3D70068 0DA375BA
	buffer_load_dwordx4 a[84:87], v39, s[24:27], 0 offen offset:1024// 000000003FCC: E05C1400 80865427
	v_mfma_i32_16x16x32_i8 v[104:107], a[188:189], v[188:189], v[104:107]// 000000003FD4: D3D70068 0DA379BC
	v_mfma_i32_16x16x32_i8 v[104:107], a[190:191], v[190:191], v[104:107]// 000000003FDC: D3D70068 0DA37DBE
	v_mfma_i32_16x16x32_i8 v[108:111], a[176:177], v[192:193], v[108:111]// 000000003FE4: D3D7006C 0DB381B0
	v_mfma_i32_16x16x32_i8 v[108:111], a[178:179], v[194:195], v[108:111]// 000000003FEC: D3D7006C 0DB385B2
	buffer_load_dwordx4 a[88:91], v39, s[24:27], 0 offen offset:2048// 000000003FF4: E05C1800 80865827
	v_mfma_i32_16x16x32_i8 v[108:111], a[180:181], v[196:197], v[108:111]// 000000003FFC: D3D7006C 0DB389B4
	v_mfma_i32_16x16x32_i8 v[108:111], a[182:183], v[198:199], v[108:111]// 000000004004: D3D7006C 0DB38DB6
	v_mfma_i32_16x16x32_i8 v[108:111], a[184:185], v[200:201], v[108:111]// 00000000400C: D3D7006C 0DB391B8
	v_mfma_i32_16x16x32_i8 v[108:111], a[186:187], v[202:203], v[108:111]// 000000004014: D3D7006C 0DB395BA
	buffer_load_dwordx4 a[92:95], v39, s[24:27], 0 offen offset:3072// 00000000401C: E05C1C00 80865C27
	v_mfma_i32_16x16x32_i8 v[108:111], a[188:189], v[204:205], v[108:111]// 000000004024: D3D7006C 0DB399BC
	v_mfma_i32_16x16x32_i8 v[108:111], a[190:191], v[206:207], v[108:111]// 00000000402C: D3D7006C 0DB39DBE
	s_add_u32 s60, 0x200, s80                                  // 000000004034: 803C50FF 00000200
	s_cmp_lt_u32 s60, s81                                      // 00000000403C: BF0A513C
	s_cselect_b32 s57, s57, 0                                  // 000000004040: 85398039
	s_add_u32 s60, 0x200, s80                                  // 000000004044: 803C50FF 00000200
	s_cmp_lt_u32 s60, s81                                      // 00000000404C: BF0A513C
	s_cselect_b32 s58, s58, 0                                  // 000000004050: 853A803A
	s_add_u32 s20, s57, s20                                    // 000000004054: 80141439
	s_addc_u32 s21, 0, s21                                     // 000000004058: 82151580
	s_add_u32 s24, s58, s24                                    // 00000000405C: 8018183A
	s_addc_u32 s25, 0, s25                                     // 000000004060: 82191980
	s_add_u32 s92, s90, s92                                    // 000000004064: 805C5C5A
	s_addc_u32 s93, 0, s93                                     // 000000004068: 825D5D80
	s_addk_i32 s80, 0x100                                      // 00000000406C: B7500100
	s_cmp_lt_i32 s80, s81                                      // 000000004070: BF045150
	s_cbranch_scc0 label_06CB                                  // 000000004074: BF84022D
	s_waitcnt vmcnt(16) lgkmcnt(0)                             // 000000004078: BF8C4070
	s_barrier                                                  // 00000000407C: BF8A0000
	v_mfma_i32_16x16x32_i8 v[128:131], a[0:1], v[208:209], v[128:131]// 000000004080: D3D70080 0E03A100
	v_mfma_i32_16x16x32_i8 v[128:131], a[2:3], v[210:211], v[128:131]// 000000004088: D3D70080 0E03A502
	buffer_load_dwordx4 a[96:99], v34, s[92:95], 0 offen       // 000000004090: E05C1000 80976022
	v_mfma_i32_16x16x32_i8 v[128:131], a[4:5], v[212:213], v[128:131]// 000000004098: D3D70080 0E03A904
	v_mfma_i32_16x16x32_i8 v[128:131], a[6:7], v[214:215], v[128:131]// 0000000040A0: D3D70080 0E03AD06
	buffer_load_dword v26, s[20:23], 0 offen lds               // 0000000040A8: E0511000 8005001A
	s_add_u32 m0, 0x100, s50                                   // 0000000040B0: 807C32FF 00000100
	v_mfma_i32_16x16x32_i8 v[128:131], a[8:9], v[216:217], v[128:131]// 0000000040B8: D3D70080 0E03B108
	v_mfma_i32_16x16x32_i8 v[128:131], a[10:11], v[218:219], v[128:131]// 0000000040C0: D3D70080 0E03B50A
	buffer_load_dwordx4 a[100:103], v34, s[92:95], 0 offen offset:1024// 0000000040C8: E05C1400 80976422
	v_mfma_i32_16x16x32_i8 v[128:131], a[12:13], v[220:221], v[128:131]// 0000000040D0: D3D70080 0E03B90C
	v_mfma_i32_16x16x32_i8 v[128:131], a[14:15], v[222:223], v[128:131]// 0000000040D8: D3D70080 0E03BD0E
	buffer_load_dword v27, s[20:23], 0 offen lds               // 0000000040E0: E0511000 8005001B
	s_add_u32 m0, 0x200, s50                                   // 0000000040E8: 807C32FF 00000200
	v_mfma_i32_16x16x32_i8 v[132:135], a[0:1], v[224:225], v[132:135]// 0000000040F0: D3D70084 0E13C100
	v_mfma_i32_16x16x32_i8 v[132:135], a[2:3], v[226:227], v[132:135]// 0000000040F8: D3D70084 0E13C502
	buffer_load_dwordx4 a[104:107], v34, s[92:95], 0 offen offset:2048// 000000004100: E05C1800 80976822
	v_mfma_i32_16x16x32_i8 v[132:135], a[4:5], v[228:229], v[132:135]// 000000004108: D3D70084 0E13C904
	v_mfma_i32_16x16x32_i8 v[132:135], a[6:7], v[230:231], v[132:135]// 000000004110: D3D70084 0E13CD06
	buffer_load_dword v28, s[20:23], 0 offen lds               // 000000004118: E0511000 8005001C
	s_add_u32 m0, 0x300, s50                                   // 000000004120: 807C32FF 00000300
	v_mfma_i32_16x16x32_i8 v[132:135], a[8:9], v[232:233], v[132:135]// 000000004128: D3D70084 0E13D108
	v_mfma_i32_16x16x32_i8 v[132:135], a[10:11], v[234:235], v[132:135]// 000000004130: D3D70084 0E13D50A
	buffer_load_dwordx4 a[108:111], v34, s[92:95], 0 offen offset:3072// 000000004138: E05C1C00 80976C22
	v_mfma_i32_16x16x32_i8 v[132:135], a[12:13], v[236:237], v[132:135]// 000000004140: D3D70084 0E13D90C
	v_mfma_i32_16x16x32_i8 v[132:135], a[14:15], v[238:239], v[132:135]// 000000004148: D3D70084 0E13DD0E
	buffer_load_dword v29, s[20:23], 0 offen lds               // 000000004150: E0511000 8005001D
	s_add_u32 m0, 0x400, s50                                   // 000000004158: 807C32FF 00000400
	v_mfma_i32_16x16x32_i8 v[136:139], a[16:17], v[208:209], v[136:139]// 000000004160: D3D70088 0E23A110
	v_mfma_i32_16x16x32_i8 v[136:139], a[18:19], v[210:211], v[136:139]// 000000004168: D3D70088 0E23A512
	buffer_load_dwordx4 a[112:115], v35, s[92:95], 0 offen     // 000000004170: E05C1000 80977023
	v_mfma_i32_16x16x32_i8 v[136:139], a[20:21], v[212:213], v[136:139]// 000000004178: D3D70088 0E23A914
	v_mfma_i32_16x16x32_i8 v[136:139], a[22:23], v[214:215], v[136:139]// 000000004180: D3D70088 0E23AD16
	buffer_load_dword v30, s[20:23], 0 offen lds               // 000000004188: E0511000 8005001E
	s_add_u32 m0, 0x500, s50                                   // 000000004190: 807C32FF 00000500
	v_mfma_i32_16x16x32_i8 v[136:139], a[24:25], v[216:217], v[136:139]// 000000004198: D3D70088 0E23B118
	v_mfma_i32_16x16x32_i8 v[136:139], a[26:27], v[218:219], v[136:139]// 0000000041A0: D3D70088 0E23B51A
	buffer_load_dwordx4 a[116:119], v35, s[92:95], 0 offen offset:1024// 0000000041A8: E05C1400 80977423
	v_mfma_i32_16x16x32_i8 v[136:139], a[28:29], v[220:221], v[136:139]// 0000000041B0: D3D70088 0E23B91C
	v_mfma_i32_16x16x32_i8 v[136:139], a[30:31], v[222:223], v[136:139]// 0000000041B8: D3D70088 0E23BD1E
	buffer_load_dword v31, s[20:23], 0 offen lds               // 0000000041C0: E0511000 8005001F
	s_add_u32 m0, 0x600, s50                                   // 0000000041C8: 807C32FF 00000600
	v_mfma_i32_16x16x32_i8 v[140:143], a[16:17], v[224:225], v[140:143]// 0000000041D0: D3D7008C 0E33C110
	v_mfma_i32_16x16x32_i8 v[140:143], a[18:19], v[226:227], v[140:143]// 0000000041D8: D3D7008C 0E33C512
	buffer_load_dwordx4 a[120:123], v35, s[92:95], 0 offen offset:2048// 0000000041E0: E05C1800 80977823
	v_mfma_i32_16x16x32_i8 v[140:143], a[20:21], v[228:229], v[140:143]// 0000000041E8: D3D7008C 0E33C914
	v_mfma_i32_16x16x32_i8 v[140:143], a[22:23], v[230:231], v[140:143]// 0000000041F0: D3D7008C 0E33CD16
	buffer_load_dword v32, s[20:23], 0 offen lds               // 0000000041F8: E0511000 80050020
	s_add_u32 m0, 0x700, s50                                   // 000000004200: 807C32FF 00000700
	v_mfma_i32_16x16x32_i8 v[140:143], a[24:25], v[232:233], v[140:143]// 000000004208: D3D7008C 0E33D118
	v_mfma_i32_16x16x32_i8 v[140:143], a[26:27], v[234:235], v[140:143]// 000000004210: D3D7008C 0E33D51A
	buffer_load_dwordx4 a[124:127], v35, s[92:95], 0 offen offset:3072// 000000004218: E05C1C00 80977C23
	v_mfma_i32_16x16x32_i8 v[140:143], a[28:29], v[236:237], v[140:143]// 000000004220: D3D7008C 0E33D91C
	v_mfma_i32_16x16x32_i8 v[140:143], a[30:31], v[238:239], v[140:143]// 000000004228: D3D7008C 0E33DD1E
	buffer_load_dword v33, s[20:23], 0 offen lds               // 000000004230: E0511000 80050021
	s_add_u32 m0, 0, s51                                       // 000000004238: 807C3380
	s_waitcnt vmcnt(28)                                        // 00000000423C: BF8C4F7C
	v_mfma_i32_16x16x32_i8 v[144:147], a[32:33], v[208:209], v[144:147]// 000000004240: D3D70090 0E43A120
	v_mfma_i32_16x16x32_i8 v[144:147], a[34:35], v[210:211], v[144:147]// 000000004248: D3D70090 0E43A522
	buffer_load_dwordx4 a[128:131], v36, s[92:95], 0 offen     // 000000004250: E05C1000 80978024
	v_mfma_i32_16x16x32_i8 v[144:147], a[36:37], v[212:213], v[144:147]// 000000004258: D3D70090 0E43A924
	v_mfma_i32_16x16x32_i8 v[144:147], a[38:39], v[214:215], v[144:147]// 000000004260: D3D70090 0E43AD26
	v_mfma_i32_16x16x32_i8 v[144:147], a[40:41], v[216:217], v[144:147]// 000000004268: D3D70090 0E43B128
	v_mfma_i32_16x16x32_i8 v[144:147], a[42:43], v[218:219], v[144:147]// 000000004270: D3D70090 0E43B52A
	buffer_load_dwordx4 a[132:135], v36, s[92:95], 0 offen offset:1024// 000000004278: E05C1400 80978424
	v_mfma_i32_16x16x32_i8 v[144:147], a[44:45], v[220:221], v[144:147]// 000000004280: D3D70090 0E43B92C
	v_mfma_i32_16x16x32_i8 v[144:147], a[46:47], v[222:223], v[144:147]// 000000004288: D3D70090 0E43BD2E
	v_mfma_i32_16x16x32_i8 v[148:151], a[32:33], v[224:225], v[148:151]// 000000004290: D3D70094 0E53C120
	v_mfma_i32_16x16x32_i8 v[148:151], a[34:35], v[226:227], v[148:151]// 000000004298: D3D70094 0E53C522
	buffer_load_dwordx4 a[136:139], v36, s[92:95], 0 offen offset:2048// 0000000042A0: E05C1800 80978824
	v_mfma_i32_16x16x32_i8 v[148:151], a[36:37], v[228:229], v[148:151]// 0000000042A8: D3D70094 0E53C924
	v_mfma_i32_16x16x32_i8 v[148:151], a[38:39], v[230:231], v[148:151]// 0000000042B0: D3D70094 0E53CD26
	v_mfma_i32_16x16x32_i8 v[148:151], a[40:41], v[232:233], v[148:151]// 0000000042B8: D3D70094 0E53D128
	v_mfma_i32_16x16x32_i8 v[148:151], a[42:43], v[234:235], v[148:151]// 0000000042C0: D3D70094 0E53D52A
	buffer_load_dwordx4 a[140:143], v36, s[92:95], 0 offen offset:3072// 0000000042C8: E05C1C00 80978C24
	v_mfma_i32_16x16x32_i8 v[148:151], a[44:45], v[236:237], v[148:151]// 0000000042D0: D3D70094 0E53D92C
	v_mfma_i32_16x16x32_i8 v[148:151], a[46:47], v[238:239], v[148:151]// 0000000042D8: D3D70094 0E53DD2E
	s_waitcnt vmcnt(28)                                        // 0000000042E0: BF8C4F7C
	v_mfma_i32_16x16x32_i8 v[152:155], a[48:49], v[208:209], v[152:155]// 0000000042E4: D3D70098 0E63A130
	v_mfma_i32_16x16x32_i8 v[152:155], a[50:51], v[210:211], v[152:155]// 0000000042EC: D3D70098 0E63A532
	buffer_load_dwordx4 a[144:147], v37, s[92:95], 0 offen     // 0000000042F4: E05C1000 80979025
	v_mfma_i32_16x16x32_i8 v[152:155], a[52:53], v[212:213], v[152:155]// 0000000042FC: D3D70098 0E63A934
	v_mfma_i32_16x16x32_i8 v[152:155], a[54:55], v[214:215], v[152:155]// 000000004304: D3D70098 0E63AD36
	v_mfma_i32_16x16x32_i8 v[152:155], a[56:57], v[216:217], v[152:155]// 00000000430C: D3D70098 0E63B138
	v_mfma_i32_16x16x32_i8 v[152:155], a[58:59], v[218:219], v[152:155]// 000000004314: D3D70098 0E63B53A
	buffer_load_dwordx4 a[148:151], v37, s[92:95], 0 offen offset:1024// 00000000431C: E05C1400 80979425
	v_mfma_i32_16x16x32_i8 v[152:155], a[60:61], v[220:221], v[152:155]// 000000004324: D3D70098 0E63B93C
	v_mfma_i32_16x16x32_i8 v[152:155], a[62:63], v[222:223], v[152:155]// 00000000432C: D3D70098 0E63BD3E
	v_mfma_i32_16x16x32_i8 v[156:159], a[48:49], v[224:225], v[156:159]// 000000004334: D3D7009C 0E73C130
	v_mfma_i32_16x16x32_i8 v[156:159], a[50:51], v[226:227], v[156:159]// 00000000433C: D3D7009C 0E73C532
	buffer_load_dwordx4 a[152:155], v37, s[92:95], 0 offen offset:2048// 000000004344: E05C1800 80979825
	v_mfma_i32_16x16x32_i8 v[156:159], a[52:53], v[228:229], v[156:159]// 00000000434C: D3D7009C 0E73C934
	v_mfma_i32_16x16x32_i8 v[156:159], a[54:55], v[230:231], v[156:159]// 000000004354: D3D7009C 0E73CD36
	v_mfma_i32_16x16x32_i8 v[156:159], a[56:57], v[232:233], v[156:159]// 00000000435C: D3D7009C 0E73D138
	v_mfma_i32_16x16x32_i8 v[156:159], a[58:59], v[234:235], v[156:159]// 000000004364: D3D7009C 0E73D53A
	buffer_load_dwordx4 a[156:159], v37, s[92:95], 0 offen offset:3072// 00000000436C: E05C1C00 80979C25
	v_mfma_i32_16x16x32_i8 v[156:159], a[60:61], v[236:237], v[156:159]// 000000004374: D3D7009C 0E73D93C
	v_mfma_i32_16x16x32_i8 v[156:159], a[62:63], v[238:239], v[156:159]// 00000000437C: D3D7009C 0E73DD3E
	s_waitcnt vmcnt(28)                                        // 000000004384: BF8C4F7C
	v_mfma_i32_16x16x32_i8 v[160:163], a[64:65], v[208:209], v[160:163]// 000000004388: D3D700A0 0E83A140
	v_mfma_i32_16x16x32_i8 v[160:163], a[66:67], v[210:211], v[160:163]// 000000004390: D3D700A0 0E83A542
	buffer_load_dwordx4 a[160:163], v38, s[92:95], 0 offen     // 000000004398: E05C1000 8097A026
	v_mfma_i32_16x16x32_i8 v[160:163], a[68:69], v[212:213], v[160:163]// 0000000043A0: D3D700A0 0E83A944
	v_mfma_i32_16x16x32_i8 v[160:163], a[70:71], v[214:215], v[160:163]// 0000000043A8: D3D700A0 0E83AD46
	v_mfma_i32_16x16x32_i8 v[160:163], a[72:73], v[216:217], v[160:163]// 0000000043B0: D3D700A0 0E83B148
	v_mfma_i32_16x16x32_i8 v[160:163], a[74:75], v[218:219], v[160:163]// 0000000043B8: D3D700A0 0E83B54A
	buffer_load_dwordx4 a[164:167], v38, s[92:95], 0 offen offset:1024// 0000000043C0: E05C1400 8097A426
	v_mfma_i32_16x16x32_i8 v[160:163], a[76:77], v[220:221], v[160:163]// 0000000043C8: D3D700A0 0E83B94C
	v_mfma_i32_16x16x32_i8 v[160:163], a[78:79], v[222:223], v[160:163]// 0000000043D0: D3D700A0 0E83BD4E
	v_mfma_i32_16x16x32_i8 v[164:167], a[64:65], v[224:225], v[164:167]// 0000000043D8: D3D700A4 0E93C140
	v_mfma_i32_16x16x32_i8 v[164:167], a[66:67], v[226:227], v[164:167]// 0000000043E0: D3D700A4 0E93C542
	buffer_load_dwordx4 a[168:171], v38, s[92:95], 0 offen offset:2048// 0000000043E8: E05C1800 8097A826
	v_mfma_i32_16x16x32_i8 v[164:167], a[68:69], v[228:229], v[164:167]// 0000000043F0: D3D700A4 0E93C944
	v_mfma_i32_16x16x32_i8 v[164:167], a[70:71], v[230:231], v[164:167]// 0000000043F8: D3D700A4 0E93CD46
	v_mfma_i32_16x16x32_i8 v[164:167], a[72:73], v[232:233], v[164:167]// 000000004400: D3D700A4 0E93D148
	v_mfma_i32_16x16x32_i8 v[164:167], a[74:75], v[234:235], v[164:167]// 000000004408: D3D700A4 0E93D54A
	buffer_load_dwordx4 a[172:175], v38, s[92:95], 0 offen offset:3072// 000000004410: E05C1C00 8097AC26
	v_mfma_i32_16x16x32_i8 v[164:167], a[76:77], v[236:237], v[164:167]// 000000004418: D3D700A4 0E93D94C
	v_mfma_i32_16x16x32_i8 v[164:167], a[78:79], v[238:239], v[164:167]// 000000004420: D3D700A4 0E93DD4E
	s_waitcnt vmcnt(28)                                        // 000000004428: BF8C4F7C
	v_mfma_i32_16x16x32_i8 v[168:171], a[80:81], v[208:209], v[168:171]// 00000000442C: D3D700A8 0EA3A150
	v_mfma_i32_16x16x32_i8 v[168:171], a[82:83], v[210:211], v[168:171]// 000000004434: D3D700A8 0EA3A552
	buffer_load_dwordx4 a[176:179], v39, s[92:95], 0 offen     // 00000000443C: E05C1000 8097B027
	v_mfma_i32_16x16x32_i8 v[168:171], a[84:85], v[212:213], v[168:171]// 000000004444: D3D700A8 0EA3A954
	v_mfma_i32_16x16x32_i8 v[168:171], a[86:87], v[214:215], v[168:171]// 00000000444C: D3D700A8 0EA3AD56
	v_mfma_i32_16x16x32_i8 v[168:171], a[88:89], v[216:217], v[168:171]// 000000004454: D3D700A8 0EA3B158
	v_mfma_i32_16x16x32_i8 v[168:171], a[90:91], v[218:219], v[168:171]// 00000000445C: D3D700A8 0EA3B55A
	buffer_load_dwordx4 a[180:183], v39, s[92:95], 0 offen offset:1024// 000000004464: E05C1400 8097B427
	v_mfma_i32_16x16x32_i8 v[168:171], a[92:93], v[220:221], v[168:171]// 00000000446C: D3D700A8 0EA3B95C
	v_mfma_i32_16x16x32_i8 v[168:171], a[94:95], v[222:223], v[168:171]// 000000004474: D3D700A8 0EA3BD5E
	v_mfma_i32_16x16x32_i8 v[172:175], a[80:81], v[224:225], v[172:175]// 00000000447C: D3D700AC 0EB3C150
	v_mfma_i32_16x16x32_i8 v[172:175], a[82:83], v[226:227], v[172:175]// 000000004484: D3D700AC 0EB3C552
	buffer_load_dwordx4 a[184:187], v39, s[92:95], 0 offen offset:2048// 00000000448C: E05C1800 8097B827
	v_mfma_i32_16x16x32_i8 v[172:175], a[84:85], v[228:229], v[172:175]// 000000004494: D3D700AC 0EB3C954
	v_mfma_i32_16x16x32_i8 v[172:175], a[86:87], v[230:231], v[172:175]// 00000000449C: D3D700AC 0EB3CD56
	v_mfma_i32_16x16x32_i8 v[172:175], a[88:89], v[232:233], v[172:175]// 0000000044A4: D3D700AC 0EB3D158
	v_mfma_i32_16x16x32_i8 v[172:175], a[90:91], v[234:235], v[172:175]// 0000000044AC: D3D700AC 0EB3D55A
	buffer_load_dwordx4 a[188:191], v39, s[92:95], 0 offen offset:3072// 0000000044B4: E05C1C00 8097BC27
	v_mfma_i32_16x16x32_i8 v[172:175], a[92:93], v[236:237], v[172:175]// 0000000044BC: D3D700AC 0EB3D95C
	v_mfma_i32_16x16x32_i8 v[172:175], a[94:95], v[238:239], v[172:175]// 0000000044C4: D3D700AC 0EB3DD5E
	s_waitcnt vmcnt(16)                                        // 0000000044CC: BF8C4F70
	s_barrier                                                  // 0000000044D0: BF8A0000
	v_mfma_i32_16x16x32_i8 v[64:67], a[96:97], v[208:209], v[64:67]// 0000000044D4: D3D70040 0D03A160
	v_mfma_i32_16x16x32_i8 v[64:67], a[98:99], v[210:211], v[64:67]// 0000000044DC: D3D70040 0D03A562
	buffer_load_dwordx4 a[0:3], v34, s[24:27], 0 offen         // 0000000044E4: E05C1000 80860022
	v_mfma_i32_16x16x32_i8 v[64:67], a[100:101], v[212:213], v[64:67]// 0000000044EC: D3D70040 0D03A964
	v_mfma_i32_16x16x32_i8 v[64:67], a[102:103], v[214:215], v[64:67]// 0000000044F4: D3D70040 0D03AD66
	v_mfma_i32_16x16x32_i8 v[64:67], a[104:105], v[216:217], v[64:67]// 0000000044FC: D3D70040 0D03B168
	v_mfma_i32_16x16x32_i8 v[64:67], a[106:107], v[218:219], v[64:67]// 000000004504: D3D70040 0D03B56A
	buffer_load_dwordx4 a[4:7], v34, s[24:27], 0 offen offset:1024// 00000000450C: E05C1400 80860422
	v_mfma_i32_16x16x32_i8 v[64:67], a[108:109], v[220:221], v[64:67]// 000000004514: D3D70040 0D03B96C
	v_mfma_i32_16x16x32_i8 v[64:67], a[110:111], v[222:223], v[64:67]// 00000000451C: D3D70040 0D03BD6E
	v_mfma_i32_16x16x32_i8 v[68:71], a[96:97], v[224:225], v[68:71]// 000000004524: D3D70044 0D13C160
	v_mfma_i32_16x16x32_i8 v[68:71], a[98:99], v[226:227], v[68:71]// 00000000452C: D3D70044 0D13C562
	buffer_load_dwordx4 a[8:11], v34, s[24:27], 0 offen offset:2048// 000000004534: E05C1800 80860822
	v_mfma_i32_16x16x32_i8 v[68:71], a[100:101], v[228:229], v[68:71]// 00000000453C: D3D70044 0D13C964
	v_mfma_i32_16x16x32_i8 v[68:71], a[102:103], v[230:231], v[68:71]// 000000004544: D3D70044 0D13CD66
	v_mfma_i32_16x16x32_i8 v[68:71], a[104:105], v[232:233], v[68:71]// 00000000454C: D3D70044 0D13D168
	v_mfma_i32_16x16x32_i8 v[68:71], a[106:107], v[234:235], v[68:71]// 000000004554: D3D70044 0D13D56A
	buffer_load_dwordx4 a[12:15], v34, s[24:27], 0 offen offset:3072// 00000000455C: E05C1C00 80860C22
	v_mfma_i32_16x16x32_i8 v[68:71], a[108:109], v[236:237], v[68:71]// 000000004564: D3D70044 0D13D96C
	v_mfma_i32_16x16x32_i8 v[68:71], a[110:111], v[238:239], v[68:71]// 00000000456C: D3D70044 0D13DD6E
	v_mfma_i32_16x16x32_i8 v[72:75], a[112:113], v[208:209], v[72:75]// 000000004574: D3D70048 0D23A170
	v_mfma_i32_16x16x32_i8 v[72:75], a[114:115], v[210:211], v[72:75]// 00000000457C: D3D70048 0D23A572
	buffer_load_dwordx4 a[16:19], v35, s[24:27], 0 offen       // 000000004584: E05C1000 80861023
	v_mfma_i32_16x16x32_i8 v[72:75], a[116:117], v[212:213], v[72:75]// 00000000458C: D3D70048 0D23A974
	v_mfma_i32_16x16x32_i8 v[72:75], a[118:119], v[214:215], v[72:75]// 000000004594: D3D70048 0D23AD76
	v_mfma_i32_16x16x32_i8 v[72:75], a[120:121], v[216:217], v[72:75]// 00000000459C: D3D70048 0D23B178
	v_mfma_i32_16x16x32_i8 v[72:75], a[122:123], v[218:219], v[72:75]// 0000000045A4: D3D70048 0D23B57A
	buffer_load_dwordx4 a[20:23], v35, s[24:27], 0 offen offset:1024// 0000000045AC: E05C1400 80861423
	v_mfma_i32_16x16x32_i8 v[72:75], a[124:125], v[220:221], v[72:75]// 0000000045B4: D3D70048 0D23B97C
	v_mfma_i32_16x16x32_i8 v[72:75], a[126:127], v[222:223], v[72:75]// 0000000045BC: D3D70048 0D23BD7E
	v_mfma_i32_16x16x32_i8 v[76:79], a[112:113], v[224:225], v[76:79]// 0000000045C4: D3D7004C 0D33C170
	v_mfma_i32_16x16x32_i8 v[76:79], a[114:115], v[226:227], v[76:79]// 0000000045CC: D3D7004C 0D33C572
	buffer_load_dwordx4 a[24:27], v35, s[24:27], 0 offen offset:2048// 0000000045D4: E05C1800 80861823
	v_mfma_i32_16x16x32_i8 v[76:79], a[116:117], v[228:229], v[76:79]// 0000000045DC: D3D7004C 0D33C974
	v_mfma_i32_16x16x32_i8 v[76:79], a[118:119], v[230:231], v[76:79]// 0000000045E4: D3D7004C 0D33CD76
	v_mfma_i32_16x16x32_i8 v[76:79], a[120:121], v[232:233], v[76:79]// 0000000045EC: D3D7004C 0D33D178
	v_mfma_i32_16x16x32_i8 v[76:79], a[122:123], v[234:235], v[76:79]// 0000000045F4: D3D7004C 0D33D57A
	buffer_load_dwordx4 a[28:31], v35, s[24:27], 0 offen offset:3072// 0000000045FC: E05C1C00 80861C23
	v_mfma_i32_16x16x32_i8 v[76:79], a[124:125], v[236:237], v[76:79]// 000000004604: D3D7004C 0D33D97C
	v_mfma_i32_16x16x32_i8 v[76:79], a[126:127], v[238:239], v[76:79]// 00000000460C: D3D7004C 0D33DD7E
	s_waitcnt vmcnt(20)                                        // 000000004614: BF8C4F74
	v_mfma_i32_16x16x32_i8 v[80:83], a[128:129], v[208:209], v[80:83]// 000000004618: D3D70050 0D43A180
	v_mfma_i32_16x16x32_i8 v[80:83], a[130:131], v[210:211], v[80:83]// 000000004620: D3D70050 0D43A582
	buffer_load_dwordx4 a[32:35], v36, s[24:27], 0 offen       // 000000004628: E05C1000 80862024
	v_mfma_i32_16x16x32_i8 v[80:83], a[132:133], v[212:213], v[80:83]// 000000004630: D3D70050 0D43A984
	v_mfma_i32_16x16x32_i8 v[80:83], a[134:135], v[214:215], v[80:83]// 000000004638: D3D70050 0D43AD86
	ds_read_b128 v[176:179], v2                                // 000000004640: D9FE0000 B0000002
	v_mfma_i32_16x16x32_i8 v[80:83], a[136:137], v[216:217], v[80:83]// 000000004648: D3D70050 0D43B188
	v_mfma_i32_16x16x32_i8 v[80:83], a[138:139], v[218:219], v[80:83]// 000000004650: D3D70050 0D43B58A
	buffer_load_dwordx4 a[36:39], v36, s[24:27], 0 offen offset:1024// 000000004658: E05C1400 80862424
	v_mfma_i32_16x16x32_i8 v[80:83], a[140:141], v[220:221], v[80:83]// 000000004660: D3D70050 0D43B98C
	v_mfma_i32_16x16x32_i8 v[80:83], a[142:143], v[222:223], v[80:83]// 000000004668: D3D70050 0D43BD8E
	ds_read_b128 v[180:183], v2 offset:64                      // 000000004670: D9FE0040 B4000002
	v_mfma_i32_16x16x32_i8 v[84:87], a[128:129], v[224:225], v[84:87]// 000000004678: D3D70054 0D53C180
	v_mfma_i32_16x16x32_i8 v[84:87], a[130:131], v[226:227], v[84:87]// 000000004680: D3D70054 0D53C582
	buffer_load_dwordx4 a[40:43], v36, s[24:27], 0 offen offset:2048// 000000004688: E05C1800 80862824
	v_mfma_i32_16x16x32_i8 v[84:87], a[132:133], v[228:229], v[84:87]// 000000004690: D3D70054 0D53C984
	v_mfma_i32_16x16x32_i8 v[84:87], a[134:135], v[230:231], v[84:87]// 000000004698: D3D70054 0D53CD86
	ds_read_b128 v[184:187], v2 offset:128                     // 0000000046A0: D9FE0080 B8000002
	v_mfma_i32_16x16x32_i8 v[84:87], a[136:137], v[232:233], v[84:87]// 0000000046A8: D3D70054 0D53D188
	v_mfma_i32_16x16x32_i8 v[84:87], a[138:139], v[234:235], v[84:87]// 0000000046B0: D3D70054 0D53D58A
	buffer_load_dwordx4 a[44:47], v36, s[24:27], 0 offen offset:3072// 0000000046B8: E05C1C00 80862C24
	v_mfma_i32_16x16x32_i8 v[84:87], a[140:141], v[236:237], v[84:87]// 0000000046C0: D3D70054 0D53D98C
	v_mfma_i32_16x16x32_i8 v[84:87], a[142:143], v[238:239], v[84:87]// 0000000046C8: D3D70054 0D53DD8E
	ds_read_b128 v[188:191], v2 offset:192                     // 0000000046D0: D9FE00C0 BC000002
	s_waitcnt vmcnt(20)                                        // 0000000046D8: BF8C4F74
	v_mfma_i32_16x16x32_i8 v[88:91], a[144:145], v[208:209], v[88:91]// 0000000046DC: D3D70058 0D63A190
	v_mfma_i32_16x16x32_i8 v[88:91], a[146:147], v[210:211], v[88:91]// 0000000046E4: D3D70058 0D63A592
	buffer_load_dwordx4 a[48:51], v37, s[24:27], 0 offen       // 0000000046EC: E05C1000 80863025
	v_mfma_i32_16x16x32_i8 v[88:91], a[148:149], v[212:213], v[88:91]// 0000000046F4: D3D70058 0D63A994
	v_mfma_i32_16x16x32_i8 v[88:91], a[150:151], v[214:215], v[88:91]// 0000000046FC: D3D70058 0D63AD96
	ds_read_b128 v[192:195], v2 offset:1024                    // 000000004704: D9FE0400 C0000002
	v_mfma_i32_16x16x32_i8 v[88:91], a[152:153], v[216:217], v[88:91]// 00000000470C: D3D70058 0D63B198
	v_mfma_i32_16x16x32_i8 v[88:91], a[154:155], v[218:219], v[88:91]// 000000004714: D3D70058 0D63B59A
	buffer_load_dwordx4 a[52:55], v37, s[24:27], 0 offen offset:1024// 00000000471C: E05C1400 80863425
	v_mfma_i32_16x16x32_i8 v[88:91], a[156:157], v[220:221], v[88:91]// 000000004724: D3D70058 0D63B99C
	v_mfma_i32_16x16x32_i8 v[88:91], a[158:159], v[222:223], v[88:91]// 00000000472C: D3D70058 0D63BD9E
	ds_read_b128 v[196:199], v2 offset:1088                    // 000000004734: D9FE0440 C4000002
	v_mfma_i32_16x16x32_i8 v[92:95], a[144:145], v[224:225], v[92:95]// 00000000473C: D3D7005C 0D73C190
	v_mfma_i32_16x16x32_i8 v[92:95], a[146:147], v[226:227], v[92:95]// 000000004744: D3D7005C 0D73C592
	buffer_load_dwordx4 a[56:59], v37, s[24:27], 0 offen offset:2048// 00000000474C: E05C1800 80863825
	v_mfma_i32_16x16x32_i8 v[92:95], a[148:149], v[228:229], v[92:95]// 000000004754: D3D7005C 0D73C994
	v_mfma_i32_16x16x32_i8 v[92:95], a[150:151], v[230:231], v[92:95]// 00000000475C: D3D7005C 0D73CD96
	ds_read_b128 v[200:203], v2 offset:1152                    // 000000004764: D9FE0480 C8000002
	v_mfma_i32_16x16x32_i8 v[92:95], a[152:153], v[232:233], v[92:95]// 00000000476C: D3D7005C 0D73D198
	v_mfma_i32_16x16x32_i8 v[92:95], a[154:155], v[234:235], v[92:95]// 000000004774: D3D7005C 0D73D59A
	buffer_load_dwordx4 a[60:63], v37, s[24:27], 0 offen offset:3072// 00000000477C: E05C1C00 80863C25
	v_mfma_i32_16x16x32_i8 v[92:95], a[156:157], v[236:237], v[92:95]// 000000004784: D3D7005C 0D73D99C
	v_mfma_i32_16x16x32_i8 v[92:95], a[158:159], v[238:239], v[92:95]// 00000000478C: D3D7005C 0D73DD9E
	ds_read_b128 v[204:207], v2 offset:1216                    // 000000004794: D9FE04C0 CC000002
	s_waitcnt vmcnt(20)                                        // 00000000479C: BF8C4F74
	v_mfma_i32_16x16x32_i8 v[96:99], a[160:161], v[208:209], v[96:99]// 0000000047A0: D3D70060 0D83A1A0
	v_mfma_i32_16x16x32_i8 v[96:99], a[162:163], v[210:211], v[96:99]// 0000000047A8: D3D70060 0D83A5A2
	buffer_load_dwordx4 a[64:67], v38, s[24:27], 0 offen       // 0000000047B0: E05C1000 80864026
	v_mfma_i32_16x16x32_i8 v[96:99], a[164:165], v[212:213], v[96:99]// 0000000047B8: D3D70060 0D83A9A4
	v_mfma_i32_16x16x32_i8 v[96:99], a[166:167], v[214:215], v[96:99]// 0000000047C0: D3D70060 0D83ADA6
	v_mfma_i32_16x16x32_i8 v[96:99], a[168:169], v[216:217], v[96:99]// 0000000047C8: D3D70060 0D83B1A8
	v_mfma_i32_16x16x32_i8 v[96:99], a[170:171], v[218:219], v[96:99]// 0000000047D0: D3D70060 0D83B5AA
	buffer_load_dwordx4 a[68:71], v38, s[24:27], 0 offen offset:1024// 0000000047D8: E05C1400 80864426
	v_mfma_i32_16x16x32_i8 v[96:99], a[172:173], v[220:221], v[96:99]// 0000000047E0: D3D70060 0D83B9AC
	v_mfma_i32_16x16x32_i8 v[96:99], a[174:175], v[222:223], v[96:99]// 0000000047E8: D3D70060 0D83BDAE
	v_mfma_i32_16x16x32_i8 v[100:103], a[160:161], v[224:225], v[100:103]// 0000000047F0: D3D70064 0D93C1A0
	v_mfma_i32_16x16x32_i8 v[100:103], a[162:163], v[226:227], v[100:103]// 0000000047F8: D3D70064 0D93C5A2
	buffer_load_dwordx4 a[72:75], v38, s[24:27], 0 offen offset:2048// 000000004800: E05C1800 80864826
	v_mfma_i32_16x16x32_i8 v[100:103], a[164:165], v[228:229], v[100:103]// 000000004808: D3D70064 0D93C9A4
	v_mfma_i32_16x16x32_i8 v[100:103], a[166:167], v[230:231], v[100:103]// 000000004810: D3D70064 0D93CDA6
	v_mfma_i32_16x16x32_i8 v[100:103], a[168:169], v[232:233], v[100:103]// 000000004818: D3D70064 0D93D1A8
	v_mfma_i32_16x16x32_i8 v[100:103], a[170:171], v[234:235], v[100:103]// 000000004820: D3D70064 0D93D5AA
	buffer_load_dwordx4 a[76:79], v38, s[24:27], 0 offen offset:3072// 000000004828: E05C1C00 80864C26
	v_mfma_i32_16x16x32_i8 v[100:103], a[172:173], v[236:237], v[100:103]// 000000004830: D3D70064 0D93D9AC
	v_mfma_i32_16x16x32_i8 v[100:103], a[174:175], v[238:239], v[100:103]// 000000004838: D3D70064 0D93DDAE
	s_waitcnt vmcnt(20)                                        // 000000004840: BF8C4F74
	v_mfma_i32_16x16x32_i8 v[104:107], a[176:177], v[208:209], v[104:107]// 000000004844: D3D70068 0DA3A1B0
	v_mfma_i32_16x16x32_i8 v[104:107], a[178:179], v[210:211], v[104:107]// 00000000484C: D3D70068 0DA3A5B2
	buffer_load_dwordx4 a[80:83], v39, s[24:27], 0 offen       // 000000004854: E05C1000 80865027
	v_mfma_i32_16x16x32_i8 v[104:107], a[180:181], v[212:213], v[104:107]// 00000000485C: D3D70068 0DA3A9B4
	v_mfma_i32_16x16x32_i8 v[104:107], a[182:183], v[214:215], v[104:107]// 000000004864: D3D70068 0DA3ADB6
	v_mfma_i32_16x16x32_i8 v[104:107], a[184:185], v[216:217], v[104:107]// 00000000486C: D3D70068 0DA3B1B8
	v_mfma_i32_16x16x32_i8 v[104:107], a[186:187], v[218:219], v[104:107]// 000000004874: D3D70068 0DA3B5BA
	buffer_load_dwordx4 a[84:87], v39, s[24:27], 0 offen offset:1024// 00000000487C: E05C1400 80865427
	v_mfma_i32_16x16x32_i8 v[104:107], a[188:189], v[220:221], v[104:107]// 000000004884: D3D70068 0DA3B9BC
	v_mfma_i32_16x16x32_i8 v[104:107], a[190:191], v[222:223], v[104:107]// 00000000488C: D3D70068 0DA3BDBE
	v_mfma_i32_16x16x32_i8 v[108:111], a[176:177], v[224:225], v[108:111]// 000000004894: D3D7006C 0DB3C1B0
	v_mfma_i32_16x16x32_i8 v[108:111], a[178:179], v[226:227], v[108:111]// 00000000489C: D3D7006C 0DB3C5B2
	buffer_load_dwordx4 a[88:91], v39, s[24:27], 0 offen offset:2048// 0000000048A4: E05C1800 80865827
	v_mfma_i32_16x16x32_i8 v[108:111], a[180:181], v[228:229], v[108:111]// 0000000048AC: D3D7006C 0DB3C9B4
	v_mfma_i32_16x16x32_i8 v[108:111], a[182:183], v[230:231], v[108:111]// 0000000048B4: D3D7006C 0DB3CDB6
	v_mfma_i32_16x16x32_i8 v[108:111], a[184:185], v[232:233], v[108:111]// 0000000048BC: D3D7006C 0DB3D1B8
	v_mfma_i32_16x16x32_i8 v[108:111], a[186:187], v[234:235], v[108:111]// 0000000048C4: D3D7006C 0DB3D5BA
	buffer_load_dwordx4 a[92:95], v39, s[24:27], 0 offen offset:3072// 0000000048CC: E05C1C00 80865C27
	v_mfma_i32_16x16x32_i8 v[108:111], a[188:189], v[236:237], v[108:111]// 0000000048D4: D3D7006C 0DB3D9BC
	v_mfma_i32_16x16x32_i8 v[108:111], a[190:191], v[238:239], v[108:111]// 0000000048DC: D3D7006C 0DB3DDBE
	s_add_u32 s60, 0x200, s80                                  // 0000000048E4: 803C50FF 00000200
	s_cmp_lt_u32 s60, s81                                      // 0000000048EC: BF0A513C
	s_cselect_b32 s57, s57, 0                                  // 0000000048F0: 85398039
	s_add_u32 s60, 0x200, s80                                  // 0000000048F4: 803C50FF 00000200
	s_cmp_lt_u32 s60, s81                                      // 0000000048FC: BF0A513C
	s_cselect_b32 s58, s58, 0                                  // 000000004900: 853A803A
	s_add_u32 s20, s57, s20                                    // 000000004904: 80141439
	s_addc_u32 s21, 0, s21                                     // 000000004908: 82151580
	s_add_u32 s24, s58, s24                                    // 00000000490C: 8018183A
	s_addc_u32 s25, 0, s25                                     // 000000004910: 82191980
	s_add_u32 s92, s90, s92                                    // 000000004914: 805C5C5A
	s_addc_u32 s93, 0, s93                                     // 000000004918: 825D5D80
	s_addk_i32 s80, 0x100                                      // 00000000491C: B7500100
	s_cmp_lt_i32 s80, s81                                      // 000000004920: BF045150
	s_cbranch_scc0 label_06CB                                  // 000000004924: BF840001
	s_branch label_0272                                        // 000000004928: BF82FBA7

000000000000492c <label_06CB>:
	s_mov_b32 s36, -1                                          // 00000000492C: BEA400C1
	s_mov_b32 s37, -1                                          // 000000004930: BEA500C1
	s_mov_b64 s[60:61], 0                                      // 000000004934: BEBC0180
	s_cmp_lt_u32 s82, s66                                      // 000000004938: BF0A4252
	s_cselect_b64 s[20:21], s[36:37], s[60:61]                 // 00000000493C: 85943C24
	s_cmp_lt_u32 s83, s66                                      // 000000004940: BF0A4253
	s_cselect_b64 s[22:23], s[36:37], s[60:61]                 // 000000004944: 85963C24
	s_cmp_lt_u32 s84, s66                                      // 000000004948: BF0A4254
	s_cselect_b64 s[24:25], s[36:37], s[60:61]                 // 00000000494C: 85983C24
	s_cmp_lt_u32 s85, s66                                      // 000000004950: BF0A4255
	s_cselect_b64 s[26:27], s[36:37], s[60:61]                 // 000000004954: 859A3C24
	s_cmp_lt_u32 s86, s66                                      // 000000004958: BF0A4256
	s_cselect_b64 s[28:29], s[36:37], s[60:61]                 // 00000000495C: 859C3C24
	s_cmp_lt_u32 s87, s66                                      // 000000004960: BF0A4257
	s_cselect_b64 s[30:31], s[36:37], s[60:61]                 // 000000004964: 859E3C24
	s_cmp_lt_u32 s88, s66                                      // 000000004968: BF0A4258
	s_cselect_b64 s[32:33], s[36:37], s[60:61]                 // 00000000496C: 85A03C24
	s_cmp_lt_u32 s89, s66                                      // 000000004970: BF0A4259
	s_cselect_b64 s[34:35], s[36:37], s[60:61]                 // 000000004974: 85A23C24
	v_cvt_f32_i32_e32 v128, v128                               // 000000004978: 7F000B80
	v_cvt_f32_i32_e32 v129, v129                               // 00000000497C: 7F020B81
	v_cvt_f32_i32_e32 v130, v130                               // 000000004980: 7F040B82
	v_cvt_f32_i32_e32 v131, v131                               // 000000004984: 7F060B83
	v_mul_f32_e32 v128, v14, v128                              // 000000004988: 0B01010E
	v_mul_f32_e32 v129, v14, v129                              // 00000000498C: 0B03030E
	v_mul_f32_e32 v130, v14, v130                              // 000000004990: 0B05050E
	v_mul_f32_e32 v131, v14, v131                              // 000000004994: 0B07070E
	v_mul_f32_dpp v128, v16, v128 row_newbcast:0 row_mask:0xf bank_mask:0xf// 000000004998: 0B0100FA FF015010
	v_mul_f32_dpp v129, v16, v129 row_newbcast:1 row_mask:0xf bank_mask:0xf// 0000000049A0: 0B0302FA FF015110
	v_mul_f32_dpp v130, v16, v130 row_newbcast:2 row_mask:0xf bank_mask:0xf// 0000000049A8: 0B0504FA FF015210
	v_mul_f32_dpp v131, v16, v131 row_newbcast:3 row_mask:0xf bank_mask:0xf// 0000000049B0: 0B0706FA FF015310
	v_cvt_f32_i32_e32 v132, v132                               // 0000000049B8: 7F080B84
	v_cvt_f32_i32_e32 v133, v133                               // 0000000049BC: 7F0A0B85
	v_cvt_f32_i32_e32 v134, v134                               // 0000000049C0: 7F0C0B86
	v_cvt_f32_i32_e32 v135, v135                               // 0000000049C4: 7F0E0B87
	v_mul_f32_e32 v132, v15, v132                              // 0000000049C8: 0B09090F
	v_mul_f32_e32 v133, v15, v133                              // 0000000049CC: 0B0B0B0F
	v_mul_f32_e32 v134, v15, v134                              // 0000000049D0: 0B0D0D0F
	v_mul_f32_e32 v135, v15, v135                              // 0000000049D4: 0B0F0F0F
	v_mul_f32_dpp v132, v16, v132 row_newbcast:0 row_mask:0xf bank_mask:0xf// 0000000049D8: 0B0908FA FF015010
	v_mul_f32_dpp v133, v16, v133 row_newbcast:1 row_mask:0xf bank_mask:0xf// 0000000049E0: 0B0B0AFA FF015110
	v_mul_f32_dpp v134, v16, v134 row_newbcast:2 row_mask:0xf bank_mask:0xf// 0000000049E8: 0B0D0CFA FF015210
	v_mul_f32_dpp v135, v16, v135 row_newbcast:3 row_mask:0xf bank_mask:0xf// 0000000049F0: 0B0F0EFA FF015310
	v_cvt_f32_i32_e32 v136, v136                               // 0000000049F8: 7F100B88
	v_cvt_f32_i32_e32 v137, v137                               // 0000000049FC: 7F120B89
	v_cvt_f32_i32_e32 v138, v138                               // 000000004A00: 7F140B8A
	v_cvt_f32_i32_e32 v139, v139                               // 000000004A04: 7F160B8B
	v_mul_f32_e32 v136, v14, v136                              // 000000004A08: 0B11110E
	v_mul_f32_e32 v137, v14, v137                              // 000000004A0C: 0B13130E
	v_mul_f32_e32 v138, v14, v138                              // 000000004A10: 0B15150E
	v_mul_f32_e32 v139, v14, v139                              // 000000004A14: 0B17170E
	v_mul_f32_dpp v136, v16, v136 row_newbcast:4 row_mask:0xf bank_mask:0xf// 000000004A18: 0B1110FA FF015410
	v_mul_f32_dpp v137, v16, v137 row_newbcast:5 row_mask:0xf bank_mask:0xf// 000000004A20: 0B1312FA FF015510
	v_mul_f32_dpp v138, v16, v138 row_newbcast:6 row_mask:0xf bank_mask:0xf// 000000004A28: 0B1514FA FF015610
	v_mul_f32_dpp v139, v16, v139 row_newbcast:7 row_mask:0xf bank_mask:0xf// 000000004A30: 0B1716FA FF015710
	v_cvt_f32_i32_e32 v140, v140                               // 000000004A38: 7F180B8C
	v_cvt_f32_i32_e32 v141, v141                               // 000000004A3C: 7F1A0B8D
	v_cvt_f32_i32_e32 v142, v142                               // 000000004A40: 7F1C0B8E
	v_cvt_f32_i32_e32 v143, v143                               // 000000004A44: 7F1E0B8F
	v_mul_f32_e32 v140, v15, v140                              // 000000004A48: 0B19190F
	v_mul_f32_e32 v141, v15, v141                              // 000000004A4C: 0B1B1B0F
	v_mul_f32_e32 v142, v15, v142                              // 000000004A50: 0B1D1D0F
	v_mul_f32_e32 v143, v15, v143                              // 000000004A54: 0B1F1F0F
	v_mul_f32_dpp v140, v16, v140 row_newbcast:4 row_mask:0xf bank_mask:0xf// 000000004A58: 0B1918FA FF015410
	v_mul_f32_dpp v141, v16, v141 row_newbcast:5 row_mask:0xf bank_mask:0xf// 000000004A60: 0B1B1AFA FF015510
	v_mul_f32_dpp v142, v16, v142 row_newbcast:6 row_mask:0xf bank_mask:0xf// 000000004A68: 0B1D1CFA FF015610
	v_mul_f32_dpp v143, v16, v143 row_newbcast:7 row_mask:0xf bank_mask:0xf// 000000004A70: 0B1F1EFA FF015710
	v_cvt_f32_i32_e32 v144, v144                               // 000000004A78: 7F200B90
	v_cvt_f32_i32_e32 v145, v145                               // 000000004A7C: 7F220B91
	v_cvt_f32_i32_e32 v146, v146                               // 000000004A80: 7F240B92
	v_cvt_f32_i32_e32 v147, v147                               // 000000004A84: 7F260B93
	v_mul_f32_e32 v144, v14, v144                              // 000000004A88: 0B21210E
	v_mul_f32_e32 v145, v14, v145                              // 000000004A8C: 0B23230E
	v_mul_f32_e32 v146, v14, v146                              // 000000004A90: 0B25250E
	v_mul_f32_e32 v147, v14, v147                              // 000000004A94: 0B27270E
	v_mul_f32_dpp v144, v16, v144 row_newbcast:8 row_mask:0xf bank_mask:0xf// 000000004A98: 0B2120FA FF015810
	v_mul_f32_dpp v145, v16, v145 row_newbcast:9 row_mask:0xf bank_mask:0xf// 000000004AA0: 0B2322FA FF015910
	v_mul_f32_dpp v146, v16, v146 row_newbcast:10 row_mask:0xf bank_mask:0xf// 000000004AA8: 0B2524FA FF015A10
	v_mul_f32_dpp v147, v16, v147 row_newbcast:11 row_mask:0xf bank_mask:0xf// 000000004AB0: 0B2726FA FF015B10
	v_cvt_f32_i32_e32 v148, v148                               // 000000004AB8: 7F280B94
	v_cvt_f32_i32_e32 v149, v149                               // 000000004ABC: 7F2A0B95
	v_cvt_f32_i32_e32 v150, v150                               // 000000004AC0: 7F2C0B96
	v_cvt_f32_i32_e32 v151, v151                               // 000000004AC4: 7F2E0B97
	v_mul_f32_e32 v148, v15, v148                              // 000000004AC8: 0B29290F
	v_mul_f32_e32 v149, v15, v149                              // 000000004ACC: 0B2B2B0F
	v_mul_f32_e32 v150, v15, v150                              // 000000004AD0: 0B2D2D0F
	v_mul_f32_e32 v151, v15, v151                              // 000000004AD4: 0B2F2F0F
	v_mul_f32_dpp v148, v16, v148 row_newbcast:8 row_mask:0xf bank_mask:0xf// 000000004AD8: 0B2928FA FF015810
	v_mul_f32_dpp v149, v16, v149 row_newbcast:9 row_mask:0xf bank_mask:0xf// 000000004AE0: 0B2B2AFA FF015910
	v_mul_f32_dpp v150, v16, v150 row_newbcast:10 row_mask:0xf bank_mask:0xf// 000000004AE8: 0B2D2CFA FF015A10
	v_mul_f32_dpp v151, v16, v151 row_newbcast:11 row_mask:0xf bank_mask:0xf// 000000004AF0: 0B2F2EFA FF015B10
	v_cvt_f32_i32_e32 v152, v152                               // 000000004AF8: 7F300B98
	v_cvt_f32_i32_e32 v153, v153                               // 000000004AFC: 7F320B99
	v_cvt_f32_i32_e32 v154, v154                               // 000000004B00: 7F340B9A
	v_cvt_f32_i32_e32 v155, v155                               // 000000004B04: 7F360B9B
	v_mul_f32_e32 v152, v14, v152                              // 000000004B08: 0B31310E
	v_mul_f32_e32 v153, v14, v153                              // 000000004B0C: 0B33330E
	v_mul_f32_e32 v154, v14, v154                              // 000000004B10: 0B35350E
	v_mul_f32_e32 v155, v14, v155                              // 000000004B14: 0B37370E
	v_mul_f32_dpp v152, v16, v152 row_newbcast:12 row_mask:0xf bank_mask:0xf// 000000004B18: 0B3130FA FF015C10
	v_mul_f32_dpp v153, v16, v153 row_newbcast:13 row_mask:0xf bank_mask:0xf// 000000004B20: 0B3332FA FF015D10
	v_mul_f32_dpp v154, v16, v154 row_newbcast:14 row_mask:0xf bank_mask:0xf// 000000004B28: 0B3534FA FF015E10
	v_mul_f32_dpp v155, v16, v155 row_newbcast:15 row_mask:0xf bank_mask:0xf// 000000004B30: 0B3736FA FF015F10
	v_cvt_f32_i32_e32 v156, v156                               // 000000004B38: 7F380B9C
	v_cvt_f32_i32_e32 v157, v157                               // 000000004B3C: 7F3A0B9D
	v_cvt_f32_i32_e32 v158, v158                               // 000000004B40: 7F3C0B9E
	v_cvt_f32_i32_e32 v159, v159                               // 000000004B44: 7F3E0B9F
	v_mul_f32_e32 v156, v15, v156                              // 000000004B48: 0B39390F
	v_mul_f32_e32 v157, v15, v157                              // 000000004B4C: 0B3B3B0F
	v_mul_f32_e32 v158, v15, v158                              // 000000004B50: 0B3D3D0F
	v_mul_f32_e32 v159, v15, v159                              // 000000004B54: 0B3F3F0F
	v_mul_f32_dpp v156, v16, v156 row_newbcast:12 row_mask:0xf bank_mask:0xf// 000000004B58: 0B3938FA FF015C10
	v_mul_f32_dpp v157, v16, v157 row_newbcast:13 row_mask:0xf bank_mask:0xf// 000000004B60: 0B3B3AFA FF015D10
	v_mul_f32_dpp v158, v16, v158 row_newbcast:14 row_mask:0xf bank_mask:0xf// 000000004B68: 0B3D3CFA FF015E10
	v_mul_f32_dpp v159, v16, v159 row_newbcast:15 row_mask:0xf bank_mask:0xf// 000000004B70: 0B3F3EFA FF015F10
	v_cvt_f32_i32_e32 v160, v160                               // 000000004B78: 7F400BA0
	v_cvt_f32_i32_e32 v161, v161                               // 000000004B7C: 7F420BA1
	v_cvt_f32_i32_e32 v162, v162                               // 000000004B80: 7F440BA2
	v_cvt_f32_i32_e32 v163, v163                               // 000000004B84: 7F460BA3
	v_mul_f32_e32 v160, v14, v160                              // 000000004B88: 0B41410E
	v_mul_f32_e32 v161, v14, v161                              // 000000004B8C: 0B43430E
	v_mul_f32_e32 v162, v14, v162                              // 000000004B90: 0B45450E
	v_mul_f32_e32 v163, v14, v163                              // 000000004B94: 0B47470E
	v_mul_f32_dpp v160, v17, v160 row_newbcast:0 row_mask:0xf bank_mask:0xf// 000000004B98: 0B4140FA FF015011
	v_mul_f32_dpp v161, v17, v161 row_newbcast:1 row_mask:0xf bank_mask:0xf// 000000004BA0: 0B4342FA FF015111
	v_mul_f32_dpp v162, v17, v162 row_newbcast:2 row_mask:0xf bank_mask:0xf// 000000004BA8: 0B4544FA FF015211
	v_mul_f32_dpp v163, v17, v163 row_newbcast:3 row_mask:0xf bank_mask:0xf// 000000004BB0: 0B4746FA FF015311
	v_cvt_f32_i32_e32 v164, v164                               // 000000004BB8: 7F480BA4
	v_cvt_f32_i32_e32 v165, v165                               // 000000004BBC: 7F4A0BA5
	v_cvt_f32_i32_e32 v166, v166                               // 000000004BC0: 7F4C0BA6
	v_cvt_f32_i32_e32 v167, v167                               // 000000004BC4: 7F4E0BA7
	v_mul_f32_e32 v164, v15, v164                              // 000000004BC8: 0B49490F
	v_mul_f32_e32 v165, v15, v165                              // 000000004BCC: 0B4B4B0F
	v_mul_f32_e32 v166, v15, v166                              // 000000004BD0: 0B4D4D0F
	v_mul_f32_e32 v167, v15, v167                              // 000000004BD4: 0B4F4F0F
	v_mul_f32_dpp v164, v17, v164 row_newbcast:0 row_mask:0xf bank_mask:0xf// 000000004BD8: 0B4948FA FF015011
	v_mul_f32_dpp v165, v17, v165 row_newbcast:1 row_mask:0xf bank_mask:0xf// 000000004BE0: 0B4B4AFA FF015111
	v_mul_f32_dpp v166, v17, v166 row_newbcast:2 row_mask:0xf bank_mask:0xf// 000000004BE8: 0B4D4CFA FF015211
	v_mul_f32_dpp v167, v17, v167 row_newbcast:3 row_mask:0xf bank_mask:0xf// 000000004BF0: 0B4F4EFA FF015311
	v_cvt_f32_i32_e32 v168, v168                               // 000000004BF8: 7F500BA8
	v_cvt_f32_i32_e32 v169, v169                               // 000000004BFC: 7F520BA9
	v_cvt_f32_i32_e32 v170, v170                               // 000000004C00: 7F540BAA
	v_cvt_f32_i32_e32 v171, v171                               // 000000004C04: 7F560BAB
	v_mul_f32_e32 v168, v14, v168                              // 000000004C08: 0B51510E
	v_mul_f32_e32 v169, v14, v169                              // 000000004C0C: 0B53530E
	v_mul_f32_e32 v170, v14, v170                              // 000000004C10: 0B55550E
	v_mul_f32_e32 v171, v14, v171                              // 000000004C14: 0B57570E
	v_mul_f32_dpp v168, v17, v168 row_newbcast:4 row_mask:0xf bank_mask:0xf// 000000004C18: 0B5150FA FF015411
	v_mul_f32_dpp v169, v17, v169 row_newbcast:5 row_mask:0xf bank_mask:0xf// 000000004C20: 0B5352FA FF015511
	v_mul_f32_dpp v170, v17, v170 row_newbcast:6 row_mask:0xf bank_mask:0xf// 000000004C28: 0B5554FA FF015611
	v_mul_f32_dpp v171, v17, v171 row_newbcast:7 row_mask:0xf bank_mask:0xf// 000000004C30: 0B5756FA FF015711
	v_cvt_f32_i32_e32 v172, v172                               // 000000004C38: 7F580BAC
	v_cvt_f32_i32_e32 v173, v173                               // 000000004C3C: 7F5A0BAD
	v_cvt_f32_i32_e32 v174, v174                               // 000000004C40: 7F5C0BAE
	v_cvt_f32_i32_e32 v175, v175                               // 000000004C44: 7F5E0BAF
	v_mul_f32_e32 v172, v15, v172                              // 000000004C48: 0B59590F
	v_mul_f32_e32 v173, v15, v173                              // 000000004C4C: 0B5B5B0F
	v_mul_f32_e32 v174, v15, v174                              // 000000004C50: 0B5D5D0F
	v_mul_f32_e32 v175, v15, v175                              // 000000004C54: 0B5F5F0F
	v_mul_f32_dpp v172, v17, v172 row_newbcast:4 row_mask:0xf bank_mask:0xf// 000000004C58: 0B5958FA FF015411
	v_mul_f32_dpp v173, v17, v173 row_newbcast:5 row_mask:0xf bank_mask:0xf// 000000004C60: 0B5B5AFA FF015511
	v_mul_f32_dpp v174, v17, v174 row_newbcast:6 row_mask:0xf bank_mask:0xf// 000000004C68: 0B5D5CFA FF015611
	v_mul_f32_dpp v175, v17, v175 row_newbcast:7 row_mask:0xf bank_mask:0xf// 000000004C70: 0B5F5EFA FF015711
	v_cvt_f32_i32_e32 v64, v64                                 // 000000004C78: 7E800B40
	v_cvt_f32_i32_e32 v65, v65                                 // 000000004C7C: 7E820B41
	v_cvt_f32_i32_e32 v66, v66                                 // 000000004C80: 7E840B42
	v_cvt_f32_i32_e32 v67, v67                                 // 000000004C84: 7E860B43
	v_mul_f32_e32 v64, v14, v64                                // 000000004C88: 0A80810E
	v_mul_f32_e32 v65, v14, v65                                // 000000004C8C: 0A82830E
	v_mul_f32_e32 v66, v14, v66                                // 000000004C90: 0A84850E
	v_mul_f32_e32 v67, v14, v67                                // 000000004C94: 0A86870E
	v_mul_f32_dpp v64, v48, v64 row_newbcast:0 row_mask:0xf bank_mask:0xf// 000000004C98: 0A8080FA FF015030
	v_mul_f32_dpp v65, v48, v65 row_newbcast:1 row_mask:0xf bank_mask:0xf// 000000004CA0: 0A8282FA FF015130
	v_mul_f32_dpp v66, v48, v66 row_newbcast:2 row_mask:0xf bank_mask:0xf// 000000004CA8: 0A8484FA FF015230
	v_mul_f32_dpp v67, v48, v67 row_newbcast:3 row_mask:0xf bank_mask:0xf// 000000004CB0: 0A8686FA FF015330
	v_cvt_f32_i32_e32 v68, v68                                 // 000000004CB8: 7E880B44
	v_cvt_f32_i32_e32 v69, v69                                 // 000000004CBC: 7E8A0B45
	v_cvt_f32_i32_e32 v70, v70                                 // 000000004CC0: 7E8C0B46
	v_cvt_f32_i32_e32 v71, v71                                 // 000000004CC4: 7E8E0B47
	v_mul_f32_e32 v68, v15, v68                                // 000000004CC8: 0A88890F
	v_mul_f32_e32 v69, v15, v69                                // 000000004CCC: 0A8A8B0F
	v_mul_f32_e32 v70, v15, v70                                // 000000004CD0: 0A8C8D0F
	v_mul_f32_e32 v71, v15, v71                                // 000000004CD4: 0A8E8F0F
	v_mul_f32_dpp v68, v48, v68 row_newbcast:0 row_mask:0xf bank_mask:0xf// 000000004CD8: 0A8888FA FF015030
	v_mul_f32_dpp v69, v48, v69 row_newbcast:1 row_mask:0xf bank_mask:0xf// 000000004CE0: 0A8A8AFA FF015130
	v_mul_f32_dpp v70, v48, v70 row_newbcast:2 row_mask:0xf bank_mask:0xf// 000000004CE8: 0A8C8CFA FF015230
	v_mul_f32_dpp v71, v48, v71 row_newbcast:3 row_mask:0xf bank_mask:0xf// 000000004CF0: 0A8E8EFA FF015330
	v_cvt_f32_i32_e32 v72, v72                                 // 000000004CF8: 7E900B48
	v_cvt_f32_i32_e32 v73, v73                                 // 000000004CFC: 7E920B49
	v_cvt_f32_i32_e32 v74, v74                                 // 000000004D00: 7E940B4A
	v_cvt_f32_i32_e32 v75, v75                                 // 000000004D04: 7E960B4B
	v_mul_f32_e32 v72, v14, v72                                // 000000004D08: 0A90910E
	v_mul_f32_e32 v73, v14, v73                                // 000000004D0C: 0A92930E
	v_mul_f32_e32 v74, v14, v74                                // 000000004D10: 0A94950E
	v_mul_f32_e32 v75, v14, v75                                // 000000004D14: 0A96970E
	v_mul_f32_dpp v72, v48, v72 row_newbcast:4 row_mask:0xf bank_mask:0xf// 000000004D18: 0A9090FA FF015430
	v_mul_f32_dpp v73, v48, v73 row_newbcast:5 row_mask:0xf bank_mask:0xf// 000000004D20: 0A9292FA FF015530
	v_mul_f32_dpp v74, v48, v74 row_newbcast:6 row_mask:0xf bank_mask:0xf// 000000004D28: 0A9494FA FF015630
	v_mul_f32_dpp v75, v48, v75 row_newbcast:7 row_mask:0xf bank_mask:0xf// 000000004D30: 0A9696FA FF015730
	v_cvt_f32_i32_e32 v76, v76                                 // 000000004D38: 7E980B4C
	v_cvt_f32_i32_e32 v77, v77                                 // 000000004D3C: 7E9A0B4D
	v_cvt_f32_i32_e32 v78, v78                                 // 000000004D40: 7E9C0B4E
	v_cvt_f32_i32_e32 v79, v79                                 // 000000004D44: 7E9E0B4F
	v_mul_f32_e32 v76, v15, v76                                // 000000004D48: 0A98990F
	v_mul_f32_e32 v77, v15, v77                                // 000000004D4C: 0A9A9B0F
	v_mul_f32_e32 v78, v15, v78                                // 000000004D50: 0A9C9D0F
	v_mul_f32_e32 v79, v15, v79                                // 000000004D54: 0A9E9F0F
	v_mul_f32_dpp v76, v48, v76 row_newbcast:4 row_mask:0xf bank_mask:0xf// 000000004D58: 0A9898FA FF015430
	v_mul_f32_dpp v77, v48, v77 row_newbcast:5 row_mask:0xf bank_mask:0xf// 000000004D60: 0A9A9AFA FF015530
	v_mul_f32_dpp v78, v48, v78 row_newbcast:6 row_mask:0xf bank_mask:0xf// 000000004D68: 0A9C9CFA FF015630
	v_mul_f32_dpp v79, v48, v79 row_newbcast:7 row_mask:0xf bank_mask:0xf// 000000004D70: 0A9E9EFA FF015730
	v_cvt_f32_i32_e32 v80, v80                                 // 000000004D78: 7EA00B50
	v_cvt_f32_i32_e32 v81, v81                                 // 000000004D7C: 7EA20B51
	v_cvt_f32_i32_e32 v82, v82                                 // 000000004D80: 7EA40B52
	v_cvt_f32_i32_e32 v83, v83                                 // 000000004D84: 7EA60B53
	v_mul_f32_e32 v80, v14, v80                                // 000000004D88: 0AA0A10E
	v_mul_f32_e32 v81, v14, v81                                // 000000004D8C: 0AA2A30E
	v_mul_f32_e32 v82, v14, v82                                // 000000004D90: 0AA4A50E
	v_mul_f32_e32 v83, v14, v83                                // 000000004D94: 0AA6A70E
	v_mul_f32_dpp v80, v48, v80 row_newbcast:8 row_mask:0xf bank_mask:0xf// 000000004D98: 0AA0A0FA FF015830
	v_mul_f32_dpp v81, v48, v81 row_newbcast:9 row_mask:0xf bank_mask:0xf// 000000004DA0: 0AA2A2FA FF015930
	v_mul_f32_dpp v82, v48, v82 row_newbcast:10 row_mask:0xf bank_mask:0xf// 000000004DA8: 0AA4A4FA FF015A30
	v_mul_f32_dpp v83, v48, v83 row_newbcast:11 row_mask:0xf bank_mask:0xf// 000000004DB0: 0AA6A6FA FF015B30
	v_cvt_f32_i32_e32 v84, v84                                 // 000000004DB8: 7EA80B54
	v_cvt_f32_i32_e32 v85, v85                                 // 000000004DBC: 7EAA0B55
	v_cvt_f32_i32_e32 v86, v86                                 // 000000004DC0: 7EAC0B56
	v_cvt_f32_i32_e32 v87, v87                                 // 000000004DC4: 7EAE0B57
	v_mul_f32_e32 v84, v15, v84                                // 000000004DC8: 0AA8A90F
	v_mul_f32_e32 v85, v15, v85                                // 000000004DCC: 0AAAAB0F
	v_mul_f32_e32 v86, v15, v86                                // 000000004DD0: 0AACAD0F
	v_mul_f32_e32 v87, v15, v87                                // 000000004DD4: 0AAEAF0F
	v_mul_f32_dpp v84, v48, v84 row_newbcast:8 row_mask:0xf bank_mask:0xf// 000000004DD8: 0AA8A8FA FF015830
	v_mul_f32_dpp v85, v48, v85 row_newbcast:9 row_mask:0xf bank_mask:0xf// 000000004DE0: 0AAAAAFA FF015930
	v_mul_f32_dpp v86, v48, v86 row_newbcast:10 row_mask:0xf bank_mask:0xf// 000000004DE8: 0AACACFA FF015A30
	v_mul_f32_dpp v87, v48, v87 row_newbcast:11 row_mask:0xf bank_mask:0xf// 000000004DF0: 0AAEAEFA FF015B30
	v_cvt_f32_i32_e32 v88, v88                                 // 000000004DF8: 7EB00B58
	v_cvt_f32_i32_e32 v89, v89                                 // 000000004DFC: 7EB20B59
	v_cvt_f32_i32_e32 v90, v90                                 // 000000004E00: 7EB40B5A
	v_cvt_f32_i32_e32 v91, v91                                 // 000000004E04: 7EB60B5B
	v_mul_f32_e32 v88, v14, v88                                // 000000004E08: 0AB0B10E
	v_mul_f32_e32 v89, v14, v89                                // 000000004E0C: 0AB2B30E
	v_mul_f32_e32 v90, v14, v90                                // 000000004E10: 0AB4B50E
	v_mul_f32_e32 v91, v14, v91                                // 000000004E14: 0AB6B70E
	v_mul_f32_dpp v88, v48, v88 row_newbcast:12 row_mask:0xf bank_mask:0xf// 000000004E18: 0AB0B0FA FF015C30
	v_mul_f32_dpp v89, v48, v89 row_newbcast:13 row_mask:0xf bank_mask:0xf// 000000004E20: 0AB2B2FA FF015D30
	v_mul_f32_dpp v90, v48, v90 row_newbcast:14 row_mask:0xf bank_mask:0xf// 000000004E28: 0AB4B4FA FF015E30
	v_mul_f32_dpp v91, v48, v91 row_newbcast:15 row_mask:0xf bank_mask:0xf// 000000004E30: 0AB6B6FA FF015F30
	v_cvt_f32_i32_e32 v92, v92                                 // 000000004E38: 7EB80B5C
	v_cvt_f32_i32_e32 v93, v93                                 // 000000004E3C: 7EBA0B5D
	v_cvt_f32_i32_e32 v94, v94                                 // 000000004E40: 7EBC0B5E
	v_cvt_f32_i32_e32 v95, v95                                 // 000000004E44: 7EBE0B5F
	v_mul_f32_e32 v92, v15, v92                                // 000000004E48: 0AB8B90F
	v_mul_f32_e32 v93, v15, v93                                // 000000004E4C: 0ABABB0F
	v_mul_f32_e32 v94, v15, v94                                // 000000004E50: 0ABCBD0F
	v_mul_f32_e32 v95, v15, v95                                // 000000004E54: 0ABEBF0F
	v_mul_f32_dpp v92, v48, v92 row_newbcast:12 row_mask:0xf bank_mask:0xf// 000000004E58: 0AB8B8FA FF015C30
	v_mul_f32_dpp v93, v48, v93 row_newbcast:13 row_mask:0xf bank_mask:0xf// 000000004E60: 0ABABAFA FF015D30
	v_mul_f32_dpp v94, v48, v94 row_newbcast:14 row_mask:0xf bank_mask:0xf// 000000004E68: 0ABCBCFA FF015E30
	v_mul_f32_dpp v95, v48, v95 row_newbcast:15 row_mask:0xf bank_mask:0xf// 000000004E70: 0ABEBEFA FF015F30
	v_cvt_f32_i32_e32 v96, v96                                 // 000000004E78: 7EC00B60
	v_cvt_f32_i32_e32 v97, v97                                 // 000000004E7C: 7EC20B61
	v_cvt_f32_i32_e32 v98, v98                                 // 000000004E80: 7EC40B62
	v_cvt_f32_i32_e32 v99, v99                                 // 000000004E84: 7EC60B63
	v_mul_f32_e32 v96, v14, v96                                // 000000004E88: 0AC0C10E
	v_mul_f32_e32 v97, v14, v97                                // 000000004E8C: 0AC2C30E
	v_mul_f32_e32 v98, v14, v98                                // 000000004E90: 0AC4C50E
	v_mul_f32_e32 v99, v14, v99                                // 000000004E94: 0AC6C70E
	v_mul_f32_dpp v96, v49, v96 row_newbcast:0 row_mask:0xf bank_mask:0xf// 000000004E98: 0AC0C0FA FF015031
	v_mul_f32_dpp v97, v49, v97 row_newbcast:1 row_mask:0xf bank_mask:0xf// 000000004EA0: 0AC2C2FA FF015131
	v_mul_f32_dpp v98, v49, v98 row_newbcast:2 row_mask:0xf bank_mask:0xf// 000000004EA8: 0AC4C4FA FF015231
	v_mul_f32_dpp v99, v49, v99 row_newbcast:3 row_mask:0xf bank_mask:0xf// 000000004EB0: 0AC6C6FA FF015331
	v_cvt_f32_i32_e32 v100, v100                               // 000000004EB8: 7EC80B64
	v_cvt_f32_i32_e32 v101, v101                               // 000000004EBC: 7ECA0B65
	v_cvt_f32_i32_e32 v102, v102                               // 000000004EC0: 7ECC0B66
	v_cvt_f32_i32_e32 v103, v103                               // 000000004EC4: 7ECE0B67
	v_mul_f32_e32 v100, v15, v100                              // 000000004EC8: 0AC8C90F
	v_mul_f32_e32 v101, v15, v101                              // 000000004ECC: 0ACACB0F
	v_mul_f32_e32 v102, v15, v102                              // 000000004ED0: 0ACCCD0F
	v_mul_f32_e32 v103, v15, v103                              // 000000004ED4: 0ACECF0F
	v_mul_f32_dpp v100, v49, v100 row_newbcast:0 row_mask:0xf bank_mask:0xf// 000000004ED8: 0AC8C8FA FF015031
	v_mul_f32_dpp v101, v49, v101 row_newbcast:1 row_mask:0xf bank_mask:0xf// 000000004EE0: 0ACACAFA FF015131
	v_mul_f32_dpp v102, v49, v102 row_newbcast:2 row_mask:0xf bank_mask:0xf// 000000004EE8: 0ACCCCFA FF015231
	v_mul_f32_dpp v103, v49, v103 row_newbcast:3 row_mask:0xf bank_mask:0xf// 000000004EF0: 0ACECEFA FF015331
	v_cvt_f32_i32_e32 v104, v104                               // 000000004EF8: 7ED00B68
	v_cvt_f32_i32_e32 v105, v105                               // 000000004EFC: 7ED20B69
	v_cvt_f32_i32_e32 v106, v106                               // 000000004F00: 7ED40B6A
	v_cvt_f32_i32_e32 v107, v107                               // 000000004F04: 7ED60B6B
	v_mul_f32_e32 v104, v14, v104                              // 000000004F08: 0AD0D10E
	v_mul_f32_e32 v105, v14, v105                              // 000000004F0C: 0AD2D30E
	v_mul_f32_e32 v106, v14, v106                              // 000000004F10: 0AD4D50E
	v_mul_f32_e32 v107, v14, v107                              // 000000004F14: 0AD6D70E
	v_mul_f32_dpp v104, v49, v104 row_newbcast:4 row_mask:0xf bank_mask:0xf// 000000004F18: 0AD0D0FA FF015431
	v_mul_f32_dpp v105, v49, v105 row_newbcast:5 row_mask:0xf bank_mask:0xf// 000000004F20: 0AD2D2FA FF015531
	v_mul_f32_dpp v106, v49, v106 row_newbcast:6 row_mask:0xf bank_mask:0xf// 000000004F28: 0AD4D4FA FF015631
	v_mul_f32_dpp v107, v49, v107 row_newbcast:7 row_mask:0xf bank_mask:0xf// 000000004F30: 0AD6D6FA FF015731
	v_cvt_f32_i32_e32 v108, v108                               // 000000004F38: 7ED80B6C
	v_cvt_f32_i32_e32 v109, v109                               // 000000004F3C: 7EDA0B6D
	v_cvt_f32_i32_e32 v110, v110                               // 000000004F40: 7EDC0B6E
	v_cvt_f32_i32_e32 v111, v111                               // 000000004F44: 7EDE0B6F
	v_mul_f32_e32 v108, v15, v108                              // 000000004F48: 0AD8D90F
	v_mul_f32_e32 v109, v15, v109                              // 000000004F4C: 0ADADB0F
	v_mul_f32_e32 v110, v15, v110                              // 000000004F50: 0ADCDD0F
	v_mul_f32_e32 v111, v15, v111                              // 000000004F54: 0ADEDF0F
	v_mul_f32_dpp v108, v49, v108 row_newbcast:4 row_mask:0xf bank_mask:0xf// 000000004F58: 0AD8D8FA FF015431
	v_mul_f32_dpp v109, v49, v109 row_newbcast:5 row_mask:0xf bank_mask:0xf// 000000004F60: 0ADADAFA FF015531
	v_mul_f32_dpp v110, v49, v110 row_newbcast:6 row_mask:0xf bank_mask:0xf// 000000004F68: 0ADCDCFA FF015631
	v_mul_f32_dpp v111, v49, v111 row_newbcast:7 row_mask:0xf bank_mask:0xf// 000000004F70: 0ADEDEFA FF015731
	s_waitcnt vmcnt(20)                                        // 000000004F78: BF8C4F74
	buffer_load_dwordx4 a[0:3], v40, s[12:15], 0 offen         // 000000004F7C: E05C1000 80830028
	v_mul_f32_e32 v50, v128, v128                              // 000000004F84: 0A650180
	v_mul_f32_e32 v51, v129, v129                              // 000000004F88: 0A670381
	v_mul_f32_e32 v52, v130, v130                              // 000000004F8C: 0A690582
	v_mul_f32_e32 v53, v131, v131                              // 000000004F90: 0A6B0783
	v_fma_f32 v50, v50, s77, v1                                // 000000004F94: D1CB0032 04049B32
	v_fma_f32 v51, v51, s77, v1                                // 000000004F9C: D1CB0033 04049B33
	v_fma_f32 v52, v52, s77, v1                                // 000000004FA4: D1CB0034 04049B34
	v_fma_f32 v53, v53, s77, v1                                // 000000004FAC: D1CB0035 04049B35
	v_mul_f32_e32 v50, v50, v128                               // 000000004FB4: 0A650132
	v_mul_f32_e32 v51, v51, v129                               // 000000004FB8: 0A670333
	v_mul_f32_e32 v52, v52, v130                               // 000000004FBC: 0A690534
	v_mul_f32_e32 v53, v53, v131                               // 000000004FC0: 0A6B0735
	v_mul_f32_e64 v50, v50, s6                                 // 000000004FC4: D1050032 00000D32
	v_mul_f32_e64 v51, v51, s6                                 // 000000004FCC: D1050033 00000D33
	v_mul_f32_e64 v52, v52, s6                                 // 000000004FD4: D1050034 00000D34
	v_mul_f32_e64 v53, v53, s6                                 // 000000004FDC: D1050035 00000D35
	v_exp_f32_e32 v50, v50                                     // 000000004FE4: 7E644132
	v_exp_f32_e32 v51, v51                                     // 000000004FE8: 7E664133
	v_exp_f32_e32 v52, v52                                     // 000000004FEC: 7E684134
	v_exp_f32_e32 v53, v53                                     // 000000004FF0: 7E6A4135
	buffer_load_dwordx4 a[4:7], v41, s[12:15], 0 offen         // 000000004FF4: E05C1000 80830429
	v_add_f32_e64 v50, v50, 1.0                                // 000000004FFC: D1010032 0001E532
	v_add_f32_e64 v51, v51, 1.0                                // 000000005004: D1010033 0001E533
	v_add_f32_e64 v52, v52, 1.0                                // 00000000500C: D1010034 0001E534
	v_add_f32_e64 v53, v53, 1.0                                // 000000005014: D1010035 0001E535
	v_rcp_f32_e32 v50, v50                                     // 00000000501C: 7E644532
	v_rcp_f32_e32 v51, v51                                     // 000000005020: 7E664533
	v_rcp_f32_e32 v52, v52                                     // 000000005024: 7E684534
	v_rcp_f32_e32 v53, v53                                     // 000000005028: 7E6A4535
	v_mul_f32_e32 v128, v128, v50                              // 00000000502C: 0B006580
	v_mul_f32_e32 v129, v129, v51                              // 000000005030: 0B026781
	v_mul_f32_e32 v130, v130, v52                              // 000000005034: 0B046982
	v_mul_f32_e32 v131, v131, v53                              // 000000005038: 0B066B83
	v_mul_f32_e32 v128, v128, v64                              // 00000000503C: 0B008180
	v_mul_f32_e32 v129, v129, v65                              // 000000005040: 0B028381
	v_mul_f32_e32 v130, v130, v66                              // 000000005044: 0B048582
	v_mul_f32_e32 v131, v131, v67                              // 000000005048: 0B068783
	buffer_load_dwordx4 a[8:11], v42, s[12:15], 0 offen        // 00000000504C: E05C1000 8083082A
	v_mul_f32_e32 v50, v132, v132                              // 000000005054: 0A650984
	v_mul_f32_e32 v51, v133, v133                              // 000000005058: 0A670B85
	v_mul_f32_e32 v52, v134, v134                              // 00000000505C: 0A690D86
	v_mul_f32_e32 v53, v135, v135                              // 000000005060: 0A6B0F87
	v_fma_f32 v50, v50, s77, v1                                // 000000005064: D1CB0032 04049B32
	v_fma_f32 v51, v51, s77, v1                                // 00000000506C: D1CB0033 04049B33
	v_fma_f32 v52, v52, s77, v1                                // 000000005074: D1CB0034 04049B34
	v_fma_f32 v53, v53, s77, v1                                // 00000000507C: D1CB0035 04049B35
	v_mul_f32_e32 v50, v50, v132                               // 000000005084: 0A650932
	v_mul_f32_e32 v51, v51, v133                               // 000000005088: 0A670B33
	v_mul_f32_e32 v52, v52, v134                               // 00000000508C: 0A690D34
	v_mul_f32_e32 v53, v53, v135                               // 000000005090: 0A6B0F35
	v_mul_f32_e64 v50, v50, s6                                 // 000000005094: D1050032 00000D32
	v_mul_f32_e64 v51, v51, s6                                 // 00000000509C: D1050033 00000D33
	v_mul_f32_e64 v52, v52, s6                                 // 0000000050A4: D1050034 00000D34
	v_mul_f32_e64 v53, v53, s6                                 // 0000000050AC: D1050035 00000D35
	v_exp_f32_e32 v50, v50                                     // 0000000050B4: 7E644132
	v_exp_f32_e32 v51, v51                                     // 0000000050B8: 7E664133
	v_exp_f32_e32 v52, v52                                     // 0000000050BC: 7E684134
	v_exp_f32_e32 v53, v53                                     // 0000000050C0: 7E6A4135
	buffer_load_dwordx4 a[12:15], v43, s[12:15], 0 offen       // 0000000050C4: E05C1000 80830C2B
	s_add_u32 s12, s78, s12                                    // 0000000050CC: 800C0C4E
	s_addc_u32 s13, 0, s13                                     // 0000000050D0: 820D0D80
	v_add_f32_e64 v50, v50, 1.0                                // 0000000050D4: D1010032 0001E532
	v_add_f32_e64 v51, v51, 1.0                                // 0000000050DC: D1010033 0001E533
	v_add_f32_e64 v52, v52, 1.0                                // 0000000050E4: D1010034 0001E534
	v_add_f32_e64 v53, v53, 1.0                                // 0000000050EC: D1010035 0001E535
	v_rcp_f32_e32 v50, v50                                     // 0000000050F4: 7E644532
	v_rcp_f32_e32 v51, v51                                     // 0000000050F8: 7E664533
	v_rcp_f32_e32 v52, v52                                     // 0000000050FC: 7E684534
	v_rcp_f32_e32 v53, v53                                     // 000000005100: 7E6A4535
	v_mul_f32_e32 v132, v132, v50                              // 000000005104: 0B086584
	v_mul_f32_e32 v133, v133, v51                              // 000000005108: 0B0A6785
	v_mul_f32_e32 v134, v134, v52                              // 00000000510C: 0B0C6986
	v_mul_f32_e32 v135, v135, v53                              // 000000005110: 0B0E6B87
	v_mul_f32_e32 v132, v132, v68                              // 000000005114: 0B088984
	v_mul_f32_e32 v133, v133, v69                              // 000000005118: 0B0A8B85
	v_mul_f32_e32 v134, v134, v70                              // 00000000511C: 0B0C8D86
	v_mul_f32_e32 v135, v135, v71                              // 000000005120: 0B0E8F87
	s_waitcnt vmcnt(20)                                        // 000000005124: BF8C4F74
	buffer_load_dwordx4 a[16:19], v40, s[12:15], 0 offen       // 000000005128: E05C1000 80831028
	v_mul_f32_e32 v50, v136, v136                              // 000000005130: 0A651188
	v_mul_f32_e32 v51, v137, v137                              // 000000005134: 0A671389
	v_mul_f32_e32 v52, v138, v138                              // 000000005138: 0A69158A
	v_mul_f32_e32 v53, v139, v139                              // 00000000513C: 0A6B178B
	v_fma_f32 v50, v50, s77, v1                                // 000000005140: D1CB0032 04049B32
	v_fma_f32 v51, v51, s77, v1                                // 000000005148: D1CB0033 04049B33
	v_fma_f32 v52, v52, s77, v1                                // 000000005150: D1CB0034 04049B34
	v_fma_f32 v53, v53, s77, v1                                // 000000005158: D1CB0035 04049B35
	v_mul_f32_e32 v50, v50, v136                               // 000000005160: 0A651132
	v_mul_f32_e32 v51, v51, v137                               // 000000005164: 0A671333
	v_mul_f32_e32 v52, v52, v138                               // 000000005168: 0A691534
	v_mul_f32_e32 v53, v53, v139                               // 00000000516C: 0A6B1735
	v_mul_f32_e64 v50, v50, s6                                 // 000000005170: D1050032 00000D32
	v_mul_f32_e64 v51, v51, s6                                 // 000000005178: D1050033 00000D33
	v_mul_f32_e64 v52, v52, s6                                 // 000000005180: D1050034 00000D34
	v_mul_f32_e64 v53, v53, s6                                 // 000000005188: D1050035 00000D35
	v_exp_f32_e32 v50, v50                                     // 000000005190: 7E644132
	v_exp_f32_e32 v51, v51                                     // 000000005194: 7E664133
	v_exp_f32_e32 v52, v52                                     // 000000005198: 7E684134
	v_exp_f32_e32 v53, v53                                     // 00000000519C: 7E6A4135
	buffer_load_dwordx4 a[20:23], v41, s[12:15], 0 offen       // 0000000051A0: E05C1000 80831429
	v_add_f32_e64 v50, v50, 1.0                                // 0000000051A8: D1010032 0001E532
	v_add_f32_e64 v51, v51, 1.0                                // 0000000051B0: D1010033 0001E533
	v_add_f32_e64 v52, v52, 1.0                                // 0000000051B8: D1010034 0001E534
	v_add_f32_e64 v53, v53, 1.0                                // 0000000051C0: D1010035 0001E535
	v_rcp_f32_e32 v50, v50                                     // 0000000051C8: 7E644532
	v_rcp_f32_e32 v51, v51                                     // 0000000051CC: 7E664533
	v_rcp_f32_e32 v52, v52                                     // 0000000051D0: 7E684534
	v_rcp_f32_e32 v53, v53                                     // 0000000051D4: 7E6A4535
	v_mul_f32_e32 v136, v136, v50                              // 0000000051D8: 0B106588
	v_mul_f32_e32 v137, v137, v51                              // 0000000051DC: 0B126789
	v_mul_f32_e32 v138, v138, v52                              // 0000000051E0: 0B14698A
	v_mul_f32_e32 v139, v139, v53                              // 0000000051E4: 0B166B8B
	v_mul_f32_e32 v136, v136, v72                              // 0000000051E8: 0B109188
	v_mul_f32_e32 v137, v137, v73                              // 0000000051EC: 0B129389
	v_mul_f32_e32 v138, v138, v74                              // 0000000051F0: 0B14958A
	v_mul_f32_e32 v139, v139, v75                              // 0000000051F4: 0B16978B
	buffer_load_dwordx4 a[24:27], v42, s[12:15], 0 offen       // 0000000051F8: E05C1000 8083182A
	v_mul_f32_e32 v50, v140, v140                              // 000000005200: 0A65198C
	v_mul_f32_e32 v51, v141, v141                              // 000000005204: 0A671B8D
	v_mul_f32_e32 v52, v142, v142                              // 000000005208: 0A691D8E
	v_mul_f32_e32 v53, v143, v143                              // 00000000520C: 0A6B1F8F
	v_fma_f32 v50, v50, s77, v1                                // 000000005210: D1CB0032 04049B32
	v_fma_f32 v51, v51, s77, v1                                // 000000005218: D1CB0033 04049B33
	v_fma_f32 v52, v52, s77, v1                                // 000000005220: D1CB0034 04049B34
	v_fma_f32 v53, v53, s77, v1                                // 000000005228: D1CB0035 04049B35
	v_mul_f32_e32 v50, v50, v140                               // 000000005230: 0A651932
	v_mul_f32_e32 v51, v51, v141                               // 000000005234: 0A671B33
	v_mul_f32_e32 v52, v52, v142                               // 000000005238: 0A691D34
	v_mul_f32_e32 v53, v53, v143                               // 00000000523C: 0A6B1F35
	v_mul_f32_e64 v50, v50, s6                                 // 000000005240: D1050032 00000D32
	v_mul_f32_e64 v51, v51, s6                                 // 000000005248: D1050033 00000D33
	v_mul_f32_e64 v52, v52, s6                                 // 000000005250: D1050034 00000D34
	v_mul_f32_e64 v53, v53, s6                                 // 000000005258: D1050035 00000D35
	v_exp_f32_e32 v50, v50                                     // 000000005260: 7E644132
	v_exp_f32_e32 v51, v51                                     // 000000005264: 7E664133
	v_exp_f32_e32 v52, v52                                     // 000000005268: 7E684134
	v_exp_f32_e32 v53, v53                                     // 00000000526C: 7E6A4135
	buffer_load_dwordx4 a[28:31], v43, s[12:15], 0 offen       // 000000005270: E05C1000 80831C2B
	s_add_u32 s12, s78, s12                                    // 000000005278: 800C0C4E
	s_addc_u32 s13, 0, s13                                     // 00000000527C: 820D0D80
	v_add_f32_e64 v50, v50, 1.0                                // 000000005280: D1010032 0001E532
	v_add_f32_e64 v51, v51, 1.0                                // 000000005288: D1010033 0001E533
	v_add_f32_e64 v52, v52, 1.0                                // 000000005290: D1010034 0001E534
	v_add_f32_e64 v53, v53, 1.0                                // 000000005298: D1010035 0001E535
	v_rcp_f32_e32 v50, v50                                     // 0000000052A0: 7E644532
	v_rcp_f32_e32 v51, v51                                     // 0000000052A4: 7E664533
	v_rcp_f32_e32 v52, v52                                     // 0000000052A8: 7E684534
	v_rcp_f32_e32 v53, v53                                     // 0000000052AC: 7E6A4535
	v_mul_f32_e32 v140, v140, v50                              // 0000000052B0: 0B18658C
	v_mul_f32_e32 v141, v141, v51                              // 0000000052B4: 0B1A678D
	v_mul_f32_e32 v142, v142, v52                              // 0000000052B8: 0B1C698E
	v_mul_f32_e32 v143, v143, v53                              // 0000000052BC: 0B1E6B8F
	v_mul_f32_e32 v140, v140, v76                              // 0000000052C0: 0B18998C
	v_mul_f32_e32 v141, v141, v77                              // 0000000052C4: 0B1A9B8D
	v_mul_f32_e32 v142, v142, v78                              // 0000000052C8: 0B1C9D8E
	v_mul_f32_e32 v143, v143, v79                              // 0000000052CC: 0B1E9F8F
	s_waitcnt vmcnt(20)                                        // 0000000052D0: BF8C4F74
	buffer_load_dwordx4 a[32:35], v40, s[12:15], 0 offen       // 0000000052D4: E05C1000 80832028
	v_mul_f32_e32 v50, v144, v144                              // 0000000052DC: 0A652190
	v_mul_f32_e32 v51, v145, v145                              // 0000000052E0: 0A672391
	v_mul_f32_e32 v52, v146, v146                              // 0000000052E4: 0A692592
	v_mul_f32_e32 v53, v147, v147                              // 0000000052E8: 0A6B2793
	v_fma_f32 v50, v50, s77, v1                                // 0000000052EC: D1CB0032 04049B32
	v_fma_f32 v51, v51, s77, v1                                // 0000000052F4: D1CB0033 04049B33
	v_fma_f32 v52, v52, s77, v1                                // 0000000052FC: D1CB0034 04049B34
	v_fma_f32 v53, v53, s77, v1                                // 000000005304: D1CB0035 04049B35
	v_mul_f32_e32 v50, v50, v144                               // 00000000530C: 0A652132
	v_mul_f32_e32 v51, v51, v145                               // 000000005310: 0A672333
	v_mul_f32_e32 v52, v52, v146                               // 000000005314: 0A692534
	v_mul_f32_e32 v53, v53, v147                               // 000000005318: 0A6B2735
	v_mul_f32_e64 v50, v50, s6                                 // 00000000531C: D1050032 00000D32
	v_mul_f32_e64 v51, v51, s6                                 // 000000005324: D1050033 00000D33
	v_mul_f32_e64 v52, v52, s6                                 // 00000000532C: D1050034 00000D34
	v_mul_f32_e64 v53, v53, s6                                 // 000000005334: D1050035 00000D35
	v_exp_f32_e32 v50, v50                                     // 00000000533C: 7E644132
	v_exp_f32_e32 v51, v51                                     // 000000005340: 7E664133
	v_exp_f32_e32 v52, v52                                     // 000000005344: 7E684134
	v_exp_f32_e32 v53, v53                                     // 000000005348: 7E6A4135
	buffer_load_dwordx4 a[36:39], v41, s[12:15], 0 offen       // 00000000534C: E05C1000 80832429
	v_add_f32_e64 v50, v50, 1.0                                // 000000005354: D1010032 0001E532
	v_add_f32_e64 v51, v51, 1.0                                // 00000000535C: D1010033 0001E533
	v_add_f32_e64 v52, v52, 1.0                                // 000000005364: D1010034 0001E534
	v_add_f32_e64 v53, v53, 1.0                                // 00000000536C: D1010035 0001E535
	v_rcp_f32_e32 v50, v50                                     // 000000005374: 7E644532
	v_rcp_f32_e32 v51, v51                                     // 000000005378: 7E664533
	v_rcp_f32_e32 v52, v52                                     // 00000000537C: 7E684534
	v_rcp_f32_e32 v53, v53                                     // 000000005380: 7E6A4535
	v_mul_f32_e32 v144, v144, v50                              // 000000005384: 0B206590
	v_mul_f32_e32 v145, v145, v51                              // 000000005388: 0B226791
	v_mul_f32_e32 v146, v146, v52                              // 00000000538C: 0B246992
	v_mul_f32_e32 v147, v147, v53                              // 000000005390: 0B266B93
	v_mul_f32_e32 v144, v144, v80                              // 000000005394: 0B20A190
	v_mul_f32_e32 v145, v145, v81                              // 000000005398: 0B22A391
	v_mul_f32_e32 v146, v146, v82                              // 00000000539C: 0B24A592
	v_mul_f32_e32 v147, v147, v83                              // 0000000053A0: 0B26A793
	buffer_load_dwordx4 a[40:43], v42, s[12:15], 0 offen       // 0000000053A4: E05C1000 8083282A
	v_mul_f32_e32 v50, v148, v148                              // 0000000053AC: 0A652994
	v_mul_f32_e32 v51, v149, v149                              // 0000000053B0: 0A672B95
	v_mul_f32_e32 v52, v150, v150                              // 0000000053B4: 0A692D96
	v_mul_f32_e32 v53, v151, v151                              // 0000000053B8: 0A6B2F97
	v_fma_f32 v50, v50, s77, v1                                // 0000000053BC: D1CB0032 04049B32
	v_fma_f32 v51, v51, s77, v1                                // 0000000053C4: D1CB0033 04049B33
	v_fma_f32 v52, v52, s77, v1                                // 0000000053CC: D1CB0034 04049B34
	v_fma_f32 v53, v53, s77, v1                                // 0000000053D4: D1CB0035 04049B35
	v_mul_f32_e32 v50, v50, v148                               // 0000000053DC: 0A652932
	v_mul_f32_e32 v51, v51, v149                               // 0000000053E0: 0A672B33
	v_mul_f32_e32 v52, v52, v150                               // 0000000053E4: 0A692D34
	v_mul_f32_e32 v53, v53, v151                               // 0000000053E8: 0A6B2F35
	v_mul_f32_e64 v50, v50, s6                                 // 0000000053EC: D1050032 00000D32
	v_mul_f32_e64 v51, v51, s6                                 // 0000000053F4: D1050033 00000D33
	v_mul_f32_e64 v52, v52, s6                                 // 0000000053FC: D1050034 00000D34
	v_mul_f32_e64 v53, v53, s6                                 // 000000005404: D1050035 00000D35
	v_exp_f32_e32 v50, v50                                     // 00000000540C: 7E644132
	v_exp_f32_e32 v51, v51                                     // 000000005410: 7E664133
	v_exp_f32_e32 v52, v52                                     // 000000005414: 7E684134
	v_exp_f32_e32 v53, v53                                     // 000000005418: 7E6A4135
	buffer_load_dwordx4 a[44:47], v43, s[12:15], 0 offen       // 00000000541C: E05C1000 80832C2B
	s_add_u32 s12, s78, s12                                    // 000000005424: 800C0C4E
	s_addc_u32 s13, 0, s13                                     // 000000005428: 820D0D80
	v_add_f32_e64 v50, v50, 1.0                                // 00000000542C: D1010032 0001E532
	v_add_f32_e64 v51, v51, 1.0                                // 000000005434: D1010033 0001E533
	v_add_f32_e64 v52, v52, 1.0                                // 00000000543C: D1010034 0001E534
	v_add_f32_e64 v53, v53, 1.0                                // 000000005444: D1010035 0001E535
	v_rcp_f32_e32 v50, v50                                     // 00000000544C: 7E644532
	v_rcp_f32_e32 v51, v51                                     // 000000005450: 7E664533
	v_rcp_f32_e32 v52, v52                                     // 000000005454: 7E684534
	v_rcp_f32_e32 v53, v53                                     // 000000005458: 7E6A4535
	v_mul_f32_e32 v148, v148, v50                              // 00000000545C: 0B286594
	v_mul_f32_e32 v149, v149, v51                              // 000000005460: 0B2A6795
	v_mul_f32_e32 v150, v150, v52                              // 000000005464: 0B2C6996
	v_mul_f32_e32 v151, v151, v53                              // 000000005468: 0B2E6B97
	v_mul_f32_e32 v148, v148, v84                              // 00000000546C: 0B28A994
	v_mul_f32_e32 v149, v149, v85                              // 000000005470: 0B2AAB95
	v_mul_f32_e32 v150, v150, v86                              // 000000005474: 0B2CAD96
	v_mul_f32_e32 v151, v151, v87                              // 000000005478: 0B2EAF97
	s_waitcnt vmcnt(20)                                        // 00000000547C: BF8C4F74
	buffer_load_dwordx4 a[48:51], v40, s[12:15], 0 offen       // 000000005480: E05C1000 80833028
	v_mul_f32_e32 v50, v152, v152                              // 000000005488: 0A653198
	v_mul_f32_e32 v51, v153, v153                              // 00000000548C: 0A673399
	v_mul_f32_e32 v52, v154, v154                              // 000000005490: 0A69359A
	v_mul_f32_e32 v53, v155, v155                              // 000000005494: 0A6B379B
	v_fma_f32 v50, v50, s77, v1                                // 000000005498: D1CB0032 04049B32
	v_fma_f32 v51, v51, s77, v1                                // 0000000054A0: D1CB0033 04049B33
	v_fma_f32 v52, v52, s77, v1                                // 0000000054A8: D1CB0034 04049B34
	v_fma_f32 v53, v53, s77, v1                                // 0000000054B0: D1CB0035 04049B35
	v_mul_f32_e32 v50, v50, v152                               // 0000000054B8: 0A653132
	v_mul_f32_e32 v51, v51, v153                               // 0000000054BC: 0A673333
	v_mul_f32_e32 v52, v52, v154                               // 0000000054C0: 0A693534
	v_mul_f32_e32 v53, v53, v155                               // 0000000054C4: 0A6B3735
	v_mul_f32_e64 v50, v50, s6                                 // 0000000054C8: D1050032 00000D32
	v_mul_f32_e64 v51, v51, s6                                 // 0000000054D0: D1050033 00000D33
	v_mul_f32_e64 v52, v52, s6                                 // 0000000054D8: D1050034 00000D34
	v_mul_f32_e64 v53, v53, s6                                 // 0000000054E0: D1050035 00000D35
	v_exp_f32_e32 v50, v50                                     // 0000000054E8: 7E644132
	v_exp_f32_e32 v51, v51                                     // 0000000054EC: 7E664133
	v_exp_f32_e32 v52, v52                                     // 0000000054F0: 7E684134
	v_exp_f32_e32 v53, v53                                     // 0000000054F4: 7E6A4135
	buffer_load_dwordx4 a[52:55], v41, s[12:15], 0 offen       // 0000000054F8: E05C1000 80833429
	v_add_f32_e64 v50, v50, 1.0                                // 000000005500: D1010032 0001E532
	v_add_f32_e64 v51, v51, 1.0                                // 000000005508: D1010033 0001E533
	v_add_f32_e64 v52, v52, 1.0                                // 000000005510: D1010034 0001E534
	v_add_f32_e64 v53, v53, 1.0                                // 000000005518: D1010035 0001E535
	v_rcp_f32_e32 v50, v50                                     // 000000005520: 7E644532
	v_rcp_f32_e32 v51, v51                                     // 000000005524: 7E664533
	v_rcp_f32_e32 v52, v52                                     // 000000005528: 7E684534
	v_rcp_f32_e32 v53, v53                                     // 00000000552C: 7E6A4535
	v_mul_f32_e32 v152, v152, v50                              // 000000005530: 0B306598
	v_mul_f32_e32 v153, v153, v51                              // 000000005534: 0B326799
	v_mul_f32_e32 v154, v154, v52                              // 000000005538: 0B34699A
	v_mul_f32_e32 v155, v155, v53                              // 00000000553C: 0B366B9B
	v_mul_f32_e32 v152, v152, v88                              // 000000005540: 0B30B198
	v_mul_f32_e32 v153, v153, v89                              // 000000005544: 0B32B399
	v_mul_f32_e32 v154, v154, v90                              // 000000005548: 0B34B59A
	v_mul_f32_e32 v155, v155, v91                              // 00000000554C: 0B36B79B
	buffer_load_dwordx4 a[56:59], v42, s[12:15], 0 offen       // 000000005550: E05C1000 8083382A
	v_mul_f32_e32 v50, v156, v156                              // 000000005558: 0A65399C
	v_mul_f32_e32 v51, v157, v157                              // 00000000555C: 0A673B9D
	v_mul_f32_e32 v52, v158, v158                              // 000000005560: 0A693D9E
	v_mul_f32_e32 v53, v159, v159                              // 000000005564: 0A6B3F9F
	v_fma_f32 v50, v50, s77, v1                                // 000000005568: D1CB0032 04049B32
	v_fma_f32 v51, v51, s77, v1                                // 000000005570: D1CB0033 04049B33
	v_fma_f32 v52, v52, s77, v1                                // 000000005578: D1CB0034 04049B34
	v_fma_f32 v53, v53, s77, v1                                // 000000005580: D1CB0035 04049B35
	v_mul_f32_e32 v50, v50, v156                               // 000000005588: 0A653932
	v_mul_f32_e32 v51, v51, v157                               // 00000000558C: 0A673B33
	v_mul_f32_e32 v52, v52, v158                               // 000000005590: 0A693D34
	v_mul_f32_e32 v53, v53, v159                               // 000000005594: 0A6B3F35
	v_mul_f32_e64 v50, v50, s6                                 // 000000005598: D1050032 00000D32
	v_mul_f32_e64 v51, v51, s6                                 // 0000000055A0: D1050033 00000D33
	v_mul_f32_e64 v52, v52, s6                                 // 0000000055A8: D1050034 00000D34
	v_mul_f32_e64 v53, v53, s6                                 // 0000000055B0: D1050035 00000D35
	v_exp_f32_e32 v50, v50                                     // 0000000055B8: 7E644132
	v_exp_f32_e32 v51, v51                                     // 0000000055BC: 7E664133
	v_exp_f32_e32 v52, v52                                     // 0000000055C0: 7E684134
	v_exp_f32_e32 v53, v53                                     // 0000000055C4: 7E6A4135
	buffer_load_dwordx4 a[60:63], v43, s[12:15], 0 offen       // 0000000055C8: E05C1000 80833C2B
	s_add_u32 s12, s78, s12                                    // 0000000055D0: 800C0C4E
	s_addc_u32 s13, 0, s13                                     // 0000000055D4: 820D0D80
	v_add_f32_e64 v50, v50, 1.0                                // 0000000055D8: D1010032 0001E532
	v_add_f32_e64 v51, v51, 1.0                                // 0000000055E0: D1010033 0001E533
	v_add_f32_e64 v52, v52, 1.0                                // 0000000055E8: D1010034 0001E534
	v_add_f32_e64 v53, v53, 1.0                                // 0000000055F0: D1010035 0001E535
	v_rcp_f32_e32 v50, v50                                     // 0000000055F8: 7E644532
	v_rcp_f32_e32 v51, v51                                     // 0000000055FC: 7E664533
	v_rcp_f32_e32 v52, v52                                     // 000000005600: 7E684534
	v_rcp_f32_e32 v53, v53                                     // 000000005604: 7E6A4535
	v_mul_f32_e32 v156, v156, v50                              // 000000005608: 0B38659C
	v_mul_f32_e32 v157, v157, v51                              // 00000000560C: 0B3A679D
	v_mul_f32_e32 v158, v158, v52                              // 000000005610: 0B3C699E
	v_mul_f32_e32 v159, v159, v53                              // 000000005614: 0B3E6B9F
	v_mul_f32_e32 v156, v156, v92                              // 000000005618: 0B38B99C
	v_mul_f32_e32 v157, v157, v93                              // 00000000561C: 0B3ABB9D
	v_mul_f32_e32 v158, v158, v94                              // 000000005620: 0B3CBD9E
	v_mul_f32_e32 v159, v159, v95                              // 000000005624: 0B3EBF9F
	s_waitcnt vmcnt(20)                                        // 000000005628: BF8C4F74
	buffer_load_dwordx4 a[64:67], v40, s[12:15], 0 offen       // 00000000562C: E05C1000 80834028
	v_mul_f32_e32 v50, v160, v160                              // 000000005634: 0A6541A0
	v_mul_f32_e32 v51, v161, v161                              // 000000005638: 0A6743A1
	v_mul_f32_e32 v52, v162, v162                              // 00000000563C: 0A6945A2
	v_mul_f32_e32 v53, v163, v163                              // 000000005640: 0A6B47A3
	v_fma_f32 v50, v50, s77, v1                                // 000000005644: D1CB0032 04049B32
	v_fma_f32 v51, v51, s77, v1                                // 00000000564C: D1CB0033 04049B33
	v_fma_f32 v52, v52, s77, v1                                // 000000005654: D1CB0034 04049B34
	v_fma_f32 v53, v53, s77, v1                                // 00000000565C: D1CB0035 04049B35
	v_mul_f32_e32 v50, v50, v160                               // 000000005664: 0A654132
	v_mul_f32_e32 v51, v51, v161                               // 000000005668: 0A674333
	v_mul_f32_e32 v52, v52, v162                               // 00000000566C: 0A694534
	v_mul_f32_e32 v53, v53, v163                               // 000000005670: 0A6B4735
	v_mul_f32_e64 v50, v50, s6                                 // 000000005674: D1050032 00000D32
	v_mul_f32_e64 v51, v51, s6                                 // 00000000567C: D1050033 00000D33
	v_mul_f32_e64 v52, v52, s6                                 // 000000005684: D1050034 00000D34
	v_mul_f32_e64 v53, v53, s6                                 // 00000000568C: D1050035 00000D35
	v_exp_f32_e32 v50, v50                                     // 000000005694: 7E644132
	v_exp_f32_e32 v51, v51                                     // 000000005698: 7E664133
	v_exp_f32_e32 v52, v52                                     // 00000000569C: 7E684134
	v_exp_f32_e32 v53, v53                                     // 0000000056A0: 7E6A4135
	buffer_load_dwordx4 a[68:71], v41, s[12:15], 0 offen       // 0000000056A4: E05C1000 80834429
	v_add_f32_e64 v50, v50, 1.0                                // 0000000056AC: D1010032 0001E532
	v_add_f32_e64 v51, v51, 1.0                                // 0000000056B4: D1010033 0001E533
	v_add_f32_e64 v52, v52, 1.0                                // 0000000056BC: D1010034 0001E534
	v_add_f32_e64 v53, v53, 1.0                                // 0000000056C4: D1010035 0001E535
	v_rcp_f32_e32 v50, v50                                     // 0000000056CC: 7E644532
	v_rcp_f32_e32 v51, v51                                     // 0000000056D0: 7E664533
	v_rcp_f32_e32 v52, v52                                     // 0000000056D4: 7E684534
	v_rcp_f32_e32 v53, v53                                     // 0000000056D8: 7E6A4535
	v_mul_f32_e32 v160, v160, v50                              // 0000000056DC: 0B4065A0
	v_mul_f32_e32 v161, v161, v51                              // 0000000056E0: 0B4267A1
	v_mul_f32_e32 v162, v162, v52                              // 0000000056E4: 0B4469A2
	v_mul_f32_e32 v163, v163, v53                              // 0000000056E8: 0B466BA3
	v_mul_f32_e32 v160, v160, v96                              // 0000000056EC: 0B40C1A0
	v_mul_f32_e32 v161, v161, v97                              // 0000000056F0: 0B42C3A1
	v_mul_f32_e32 v162, v162, v98                              // 0000000056F4: 0B44C5A2
	v_mul_f32_e32 v163, v163, v99                              // 0000000056F8: 0B46C7A3
	buffer_load_dwordx4 a[72:75], v42, s[12:15], 0 offen       // 0000000056FC: E05C1000 8083482A
	v_mul_f32_e32 v50, v164, v164                              // 000000005704: 0A6549A4
	v_mul_f32_e32 v51, v165, v165                              // 000000005708: 0A674BA5
	v_mul_f32_e32 v52, v166, v166                              // 00000000570C: 0A694DA6
	v_mul_f32_e32 v53, v167, v167                              // 000000005710: 0A6B4FA7
	v_fma_f32 v50, v50, s77, v1                                // 000000005714: D1CB0032 04049B32
	v_fma_f32 v51, v51, s77, v1                                // 00000000571C: D1CB0033 04049B33
	v_fma_f32 v52, v52, s77, v1                                // 000000005724: D1CB0034 04049B34
	v_fma_f32 v53, v53, s77, v1                                // 00000000572C: D1CB0035 04049B35
	v_mul_f32_e32 v50, v50, v164                               // 000000005734: 0A654932
	v_mul_f32_e32 v51, v51, v165                               // 000000005738: 0A674B33
	v_mul_f32_e32 v52, v52, v166                               // 00000000573C: 0A694D34
	v_mul_f32_e32 v53, v53, v167                               // 000000005740: 0A6B4F35
	v_mul_f32_e64 v50, v50, s6                                 // 000000005744: D1050032 00000D32
	v_mul_f32_e64 v51, v51, s6                                 // 00000000574C: D1050033 00000D33
	v_mul_f32_e64 v52, v52, s6                                 // 000000005754: D1050034 00000D34
	v_mul_f32_e64 v53, v53, s6                                 // 00000000575C: D1050035 00000D35
	v_exp_f32_e32 v50, v50                                     // 000000005764: 7E644132
	v_exp_f32_e32 v51, v51                                     // 000000005768: 7E664133
	v_exp_f32_e32 v52, v52                                     // 00000000576C: 7E684134
	v_exp_f32_e32 v53, v53                                     // 000000005770: 7E6A4135
	buffer_load_dwordx4 a[76:79], v43, s[12:15], 0 offen       // 000000005774: E05C1000 80834C2B
	s_add_u32 s12, s78, s12                                    // 00000000577C: 800C0C4E
	s_addc_u32 s13, 0, s13                                     // 000000005780: 820D0D80
	v_add_f32_e64 v50, v50, 1.0                                // 000000005784: D1010032 0001E532
	v_add_f32_e64 v51, v51, 1.0                                // 00000000578C: D1010033 0001E533
	v_add_f32_e64 v52, v52, 1.0                                // 000000005794: D1010034 0001E534
	v_add_f32_e64 v53, v53, 1.0                                // 00000000579C: D1010035 0001E535
	v_rcp_f32_e32 v50, v50                                     // 0000000057A4: 7E644532
	v_rcp_f32_e32 v51, v51                                     // 0000000057A8: 7E664533
	v_rcp_f32_e32 v52, v52                                     // 0000000057AC: 7E684534
	v_rcp_f32_e32 v53, v53                                     // 0000000057B0: 7E6A4535
	v_mul_f32_e32 v164, v164, v50                              // 0000000057B4: 0B4865A4
	v_mul_f32_e32 v165, v165, v51                              // 0000000057B8: 0B4A67A5
	v_mul_f32_e32 v166, v166, v52                              // 0000000057BC: 0B4C69A6
	v_mul_f32_e32 v167, v167, v53                              // 0000000057C0: 0B4E6BA7
	v_mul_f32_e32 v164, v164, v100                             // 0000000057C4: 0B48C9A4
	v_mul_f32_e32 v165, v165, v101                             // 0000000057C8: 0B4ACBA5
	v_mul_f32_e32 v166, v166, v102                             // 0000000057CC: 0B4CCDA6
	v_mul_f32_e32 v167, v167, v103                             // 0000000057D0: 0B4ECFA7
	s_waitcnt vmcnt(20)                                        // 0000000057D4: BF8C4F74
	buffer_load_dwordx4 a[80:83], v40, s[12:15], 0 offen       // 0000000057D8: E05C1000 80835028
	v_mul_f32_e32 v50, v168, v168                              // 0000000057E0: 0A6551A8
	v_mul_f32_e32 v51, v169, v169                              // 0000000057E4: 0A6753A9
	v_mul_f32_e32 v52, v170, v170                              // 0000000057E8: 0A6955AA
	v_mul_f32_e32 v53, v171, v171                              // 0000000057EC: 0A6B57AB
	v_fma_f32 v50, v50, s77, v1                                // 0000000057F0: D1CB0032 04049B32
	v_fma_f32 v51, v51, s77, v1                                // 0000000057F8: D1CB0033 04049B33
	v_fma_f32 v52, v52, s77, v1                                // 000000005800: D1CB0034 04049B34
	v_fma_f32 v53, v53, s77, v1                                // 000000005808: D1CB0035 04049B35
	v_mul_f32_e32 v50, v50, v168                               // 000000005810: 0A655132
	v_mul_f32_e32 v51, v51, v169                               // 000000005814: 0A675333
	v_mul_f32_e32 v52, v52, v170                               // 000000005818: 0A695534
	v_mul_f32_e32 v53, v53, v171                               // 00000000581C: 0A6B5735
	v_mul_f32_e64 v50, v50, s6                                 // 000000005820: D1050032 00000D32
	v_mul_f32_e64 v51, v51, s6                                 // 000000005828: D1050033 00000D33
	v_mul_f32_e64 v52, v52, s6                                 // 000000005830: D1050034 00000D34
	v_mul_f32_e64 v53, v53, s6                                 // 000000005838: D1050035 00000D35
	v_exp_f32_e32 v50, v50                                     // 000000005840: 7E644132
	v_exp_f32_e32 v51, v51                                     // 000000005844: 7E664133
	v_exp_f32_e32 v52, v52                                     // 000000005848: 7E684134
	v_exp_f32_e32 v53, v53                                     // 00000000584C: 7E6A4135
	buffer_load_dwordx4 a[84:87], v41, s[12:15], 0 offen       // 000000005850: E05C1000 80835429
	v_add_f32_e64 v50, v50, 1.0                                // 000000005858: D1010032 0001E532
	v_add_f32_e64 v51, v51, 1.0                                // 000000005860: D1010033 0001E533
	v_add_f32_e64 v52, v52, 1.0                                // 000000005868: D1010034 0001E534
	v_add_f32_e64 v53, v53, 1.0                                // 000000005870: D1010035 0001E535
	v_rcp_f32_e32 v50, v50                                     // 000000005878: 7E644532
	v_rcp_f32_e32 v51, v51                                     // 00000000587C: 7E664533
	v_rcp_f32_e32 v52, v52                                     // 000000005880: 7E684534
	v_rcp_f32_e32 v53, v53                                     // 000000005884: 7E6A4535
	v_mul_f32_e32 v168, v168, v50                              // 000000005888: 0B5065A8
	v_mul_f32_e32 v169, v169, v51                              // 00000000588C: 0B5267A9
	v_mul_f32_e32 v170, v170, v52                              // 000000005890: 0B5469AA
	v_mul_f32_e32 v171, v171, v53                              // 000000005894: 0B566BAB
	v_mul_f32_e32 v168, v168, v104                             // 000000005898: 0B50D1A8
	v_mul_f32_e32 v169, v169, v105                             // 00000000589C: 0B52D3A9
	v_mul_f32_e32 v170, v170, v106                             // 0000000058A0: 0B54D5AA
	v_mul_f32_e32 v171, v171, v107                             // 0000000058A4: 0B56D7AB
	buffer_load_dwordx4 a[88:91], v42, s[12:15], 0 offen       // 0000000058A8: E05C1000 8083582A
	v_mul_f32_e32 v50, v172, v172                              // 0000000058B0: 0A6559AC
	v_mul_f32_e32 v51, v173, v173                              // 0000000058B4: 0A675BAD
	v_mul_f32_e32 v52, v174, v174                              // 0000000058B8: 0A695DAE
	v_mul_f32_e32 v53, v175, v175                              // 0000000058BC: 0A6B5FAF
	v_fma_f32 v50, v50, s77, v1                                // 0000000058C0: D1CB0032 04049B32
	v_fma_f32 v51, v51, s77, v1                                // 0000000058C8: D1CB0033 04049B33
	v_fma_f32 v52, v52, s77, v1                                // 0000000058D0: D1CB0034 04049B34
	v_fma_f32 v53, v53, s77, v1                                // 0000000058D8: D1CB0035 04049B35
	v_mul_f32_e32 v50, v50, v172                               // 0000000058E0: 0A655932
	v_mul_f32_e32 v51, v51, v173                               // 0000000058E4: 0A675B33
	v_mul_f32_e32 v52, v52, v174                               // 0000000058E8: 0A695D34
	v_mul_f32_e32 v53, v53, v175                               // 0000000058EC: 0A6B5F35
	v_mul_f32_e64 v50, v50, s6                                 // 0000000058F0: D1050032 00000D32
	v_mul_f32_e64 v51, v51, s6                                 // 0000000058F8: D1050033 00000D33
	v_mul_f32_e64 v52, v52, s6                                 // 000000005900: D1050034 00000D34
	v_mul_f32_e64 v53, v53, s6                                 // 000000005908: D1050035 00000D35
	v_exp_f32_e32 v50, v50                                     // 000000005910: 7E644132
	v_exp_f32_e32 v51, v51                                     // 000000005914: 7E664133
	v_exp_f32_e32 v52, v52                                     // 000000005918: 7E684134
	v_exp_f32_e32 v53, v53                                     // 00000000591C: 7E6A4135
	buffer_load_dwordx4 a[92:95], v43, s[12:15], 0 offen       // 000000005920: E05C1000 80835C2B
	v_add_f32_e64 v50, v50, 1.0                                // 000000005928: D1010032 0001E532
	v_add_f32_e64 v51, v51, 1.0                                // 000000005930: D1010033 0001E533
	v_add_f32_e64 v52, v52, 1.0                                // 000000005938: D1010034 0001E534
	v_add_f32_e64 v53, v53, 1.0                                // 000000005940: D1010035 0001E535
	v_rcp_f32_e32 v50, v50                                     // 000000005948: 7E644532
	v_rcp_f32_e32 v51, v51                                     // 00000000594C: 7E664533
	v_rcp_f32_e32 v52, v52                                     // 000000005950: 7E684534
	v_rcp_f32_e32 v53, v53                                     // 000000005954: 7E6A4535
	v_mul_f32_e32 v172, v172, v50                              // 000000005958: 0B5865AC
	v_mul_f32_e32 v173, v173, v51                              // 00000000595C: 0B5A67AD
	v_mul_f32_e32 v174, v174, v52                              // 000000005960: 0B5C69AE
	v_mul_f32_e32 v175, v175, v53                              // 000000005964: 0B5E6BAF
	v_mul_f32_e32 v172, v172, v108                             // 000000005968: 0B58D9AC
	v_mul_f32_e32 v173, v173, v109                             // 00000000596C: 0B5ADBAD
	v_mul_f32_e32 v174, v174, v110                             // 000000005970: 0B5CDDAE
	v_mul_f32_e32 v175, v175, v111                             // 000000005974: 0B5EDFAF
	v_lshlrev_b32_e32 v50, 2, v0                               // 000000005978: 24640082
	s_mul_i32 s60, s82, s71                                    // 00000000597C: 923C4752
	v_add_u32_e64 v80, v50, s60                                // 000000005980: D1340050 00007932
	v_mov_b32_e32 v81, 0                                       // 000000005988: 7EA20280
	s_mul_i32 s60, s83, s71                                    // 00000000598C: 923C4753
	v_add_u32_e64 v82, v50, s60                                // 000000005990: D1340052 00007932
	v_mov_b32_e32 v83, 0                                       // 000000005998: 7EA60280
	s_mul_i32 s60, s84, s71                                    // 00000000599C: 923C4754
	v_add_u32_e64 v84, v50, s60                                // 0000000059A0: D1340054 00007932
	v_mov_b32_e32 v85, 0                                       // 0000000059A8: 7EAA0280
	s_mul_i32 s60, s85, s71                                    // 0000000059AC: 923C4755
	v_add_u32_e64 v86, v50, s60                                // 0000000059B0: D1340056 00007932
	v_mov_b32_e32 v87, 0                                       // 0000000059B8: 7EAE0280
	s_mul_i32 s60, s86, s71                                    // 0000000059BC: 923C4756
	v_add_u32_e64 v88, v50, s60                                // 0000000059C0: D1340058 00007932
	v_mov_b32_e32 v89, 0                                       // 0000000059C8: 7EB20280
	s_mul_i32 s60, s87, s71                                    // 0000000059CC: 923C4757
	v_add_u32_e64 v90, v50, s60                                // 0000000059D0: D134005A 00007932
	v_mov_b32_e32 v91, 0                                       // 0000000059D8: 7EB60280
	s_mul_i32 s60, s88, s71                                    // 0000000059DC: 923C4758
	v_add_u32_e64 v92, v50, s60                                // 0000000059E0: D134005C 00007932
	v_mov_b32_e32 v93, 0                                       // 0000000059E8: 7EBA0280
	s_mul_i32 s60, s89, s71                                    // 0000000059EC: 923C4759
	v_add_u32_e64 v94, v50, s60                                // 0000000059F0: D134005E 00007932
	v_mov_b32_e32 v95, 0                                       // 0000000059F8: 7EBE0280
	buffer_load_dword v12, v5, s[16:19], 0 offen               // 0000000059FC: E0501000 80040C05
	v_mov_b32_e32 v22, 0x358637bd                              // 000000005A04: 7E2C02FF 358637BD
	v_mov_b32_e32 v23, 0x358637bd                              // 000000005A0C: 7E2E02FF 358637BD
	v_max3_f32 v22, |v128|, |v129|, v22                        // 000000005A14: D1D30316 045B0380
	v_max3_f32 v22, |v130|, |v131|, v22                        // 000000005A1C: D1D30316 045B0782
	v_max3_f32 v23, |v132|, |v133|, v23                        // 000000005A24: D1D30317 045F0B84
	v_max3_f32 v23, |v134|, |v135|, v23                        // 000000005A2C: D1D30317 045F0F86
	v_max3_f32 v22, |v136|, |v137|, v22                        // 000000005A34: D1D30316 045B1388
	v_max3_f32 v22, |v138|, |v139|, v22                        // 000000005A3C: D1D30316 045B178A
	v_max3_f32 v23, |v140|, |v141|, v23                        // 000000005A44: D1D30317 045F1B8C
	v_max3_f32 v23, |v142|, |v143|, v23                        // 000000005A4C: D1D30317 045F1F8E
	v_max3_f32 v22, |v144|, |v145|, v22                        // 000000005A54: D1D30316 045B2390
	v_max3_f32 v22, |v146|, |v147|, v22                        // 000000005A5C: D1D30316 045B2792
	v_max3_f32 v23, |v148|, |v149|, v23                        // 000000005A64: D1D30317 045F2B94
	v_max3_f32 v23, |v150|, |v151|, v23                        // 000000005A6C: D1D30317 045F2F96
	v_max3_f32 v22, |v152|, |v153|, v22                        // 000000005A74: D1D30316 045B3398
	v_max3_f32 v22, |v154|, |v155|, v22                        // 000000005A7C: D1D30316 045B379A
	v_max3_f32 v23, |v156|, |v157|, v23                        // 000000005A84: D1D30317 045F3B9C
	v_max3_f32 v23, |v158|, |v159|, v23                        // 000000005A8C: D1D30317 045F3F9E
	v_max3_f32 v22, |v160|, |v161|, v22                        // 000000005A94: D1D30316 045B43A0
	v_max3_f32 v22, |v162|, |v163|, v22                        // 000000005A9C: D1D30316 045B47A2
	v_max3_f32 v23, |v164|, |v165|, v23                        // 000000005AA4: D1D30317 045F4BA4
	v_max3_f32 v23, |v166|, |v167|, v23                        // 000000005AAC: D1D30317 045F4FA6
	v_max3_f32 v22, |v168|, |v169|, v22                        // 000000005AB4: D1D30316 045B53A8
	v_max3_f32 v22, |v170|, |v171|, v22                        // 000000005ABC: D1D30316 045B57AA
	v_max3_f32 v23, |v172|, |v173|, v23                        // 000000005AC4: D1D30317 045F5BAC
	v_max3_f32 v23, |v174|, |v175|, v23                        // 000000005ACC: D1D30317 045F5FAE
	v_lshlrev_b32_e32 v50, 3, v0                               // 000000005AD4: 24640083
	s_mul_i32 s60, 0x200, s7                                   // 000000005AD8: 923C07FF 00000200
	v_add_u32_e32 v50, s60, v50                                // 000000005AE0: 6864643C
	ds_write_b64 v50, v[22:23] offset:16640                    // 000000005AE4: D89A4100 00001632
	s_waitcnt lgkmcnt(0)                                       // 000000005AEC: BF8CC07F
	s_barrier                                                  // 000000005AF0: BF8A0000
	v_and_b32_e32 v50, 15, v0                                  // 000000005AF4: 2664008F
	v_lshlrev_b32_e32 v50, 3, v50                              // 000000005AF8: 24646483
	ds_read_b64 v[96:97], v50 offset:16640                     // 000000005AFC: D8EC4100 60000032
	ds_read_b64 v[98:99], v50 offset:16768                     // 000000005B04: D8EC4180 62000032
	ds_read_b64 v[100:101], v50 offset:16896                   // 000000005B0C: D8EC4200 64000032
	ds_read_b64 v[102:103], v50 offset:17024                   // 000000005B14: D8EC4280 66000032
	ds_read_b64 v[104:105], v50 offset:17152                   // 000000005B1C: D8EC4300 68000032
	ds_read_b64 v[106:107], v50 offset:17280                   // 000000005B24: D8EC4380 6A000032
	ds_read_b64 v[108:109], v50 offset:17408                   // 000000005B2C: D8EC4400 6C000032
	ds_read_b64 v[110:111], v50 offset:17536                   // 000000005B34: D8EC4480 6E000032
	ds_read_b64 v[112:113], v50 offset:17664                   // 000000005B3C: D8EC4500 70000032
	ds_read_b64 v[114:115], v50 offset:17792                   // 000000005B44: D8EC4580 72000032
	ds_read_b64 v[116:117], v50 offset:17920                   // 000000005B4C: D8EC4600 74000032
	ds_read_b64 v[118:119], v50 offset:18048                   // 000000005B54: D8EC4680 76000032
	ds_read_b64 v[120:121], v50 offset:18176                   // 000000005B5C: D8EC4700 78000032
	ds_read_b64 v[122:123], v50 offset:18304                   // 000000005B64: D8EC4780 7A000032
	ds_read_b64 v[124:125], v50 offset:18432                   // 000000005B6C: D8EC4800 7C000032
	ds_read_b64 v[126:127], v50 offset:18560                   // 000000005B74: D8EC4880 7E000032
	s_waitcnt lgkmcnt(0)                                       // 000000005B7C: BF8CC07F
	v_max3_f32 v22, |v96|, |v98|, v22                          // 000000005B80: D1D30316 045AC560
	v_max3_f32 v23, |v97|, |v99|, v23                          // 000000005B88: D1D30317 045EC761
	v_max3_f32 v22, |v100|, |v102|, v22                        // 000000005B90: D1D30316 045ACD64
	v_max3_f32 v23, |v101|, |v103|, v23                        // 000000005B98: D1D30317 045ECF65
	v_max3_f32 v22, |v104|, |v106|, v22                        // 000000005BA0: D1D30316 045AD568
	v_max3_f32 v23, |v105|, |v107|, v23                        // 000000005BA8: D1D30317 045ED769
	v_max3_f32 v22, |v108|, |v110|, v22                        // 000000005BB0: D1D30316 045ADD6C
	v_max3_f32 v23, |v109|, |v111|, v23                        // 000000005BB8: D1D30317 045EDF6D
	v_max3_f32 v22, |v112|, |v114|, v22                        // 000000005BC0: D1D30316 045AE570
	v_max3_f32 v23, |v113|, |v115|, v23                        // 000000005BC8: D1D30317 045EE771
	v_max3_f32 v22, |v116|, |v118|, v22                        // 000000005BD0: D1D30316 045AED74
	v_max3_f32 v23, |v117|, |v119|, v23                        // 000000005BD8: D1D30317 045EEF75
	v_max3_f32 v22, |v120|, |v122|, v22                        // 000000005BE0: D1D30316 045AF578
	v_max3_f32 v23, |v121|, |v123|, v23                        // 000000005BE8: D1D30317 045EF779
	v_max3_f32 v22, |v124|, |v126|, v22                        // 000000005BF0: D1D30316 045AFD7C
	v_max3_f32 v23, |v125|, |v127|, v23                        // 000000005BF8: D1D30317 045EFF7D
	v_rcp_f32_e32 v22, v22                                     // 000000005C00: 7E2C4516
	v_rcp_f32_e32 v23, v23                                     // 000000005C04: 7E2E4517
	v_mul_f32_e32 v22, 0x42fe0000, v22                         // 000000005C08: 0A2C2CFF 42FE0000
	v_mul_f32_e32 v23, 0x42fe0000, v23                         // 000000005C10: 0A2E2EFF 42FE0000
	v_mul_f32_e32 v128, v22, v128                              // 000000005C18: 0B010116
	v_mul_f32_e32 v129, v22, v129                              // 000000005C1C: 0B030316
	v_mul_f32_e32 v130, v22, v130                              // 000000005C20: 0B050516
	v_mul_f32_e32 v131, v22, v131                              // 000000005C24: 0B070716
	v_cvt_i32_f32_e32 v128, v128                               // 000000005C28: 7F001180
	v_cvt_i32_f32_e32 v129, v129                               // 000000005C2C: 7F021181
	v_cvt_i32_f32_e32 v130, v130                               // 000000005C30: 7F041182
	v_cvt_i32_f32_e32 v131, v131                               // 000000005C34: 7F061183
	v_perm_b32 v128, v129, v128, s53                           // 000000005C38: D1ED0080 00D70181
	v_perm_b32 v128, v130, v128, s54                           // 000000005C40: D1ED0080 00DB0182
	v_perm_b32 v128, v131, v128, s55                           // 000000005C48: D1ED0080 00DF0183
	v_mul_f32_e32 v132, v23, v132                              // 000000005C50: 0B090917
	v_mul_f32_e32 v133, v23, v133                              // 000000005C54: 0B0B0B17
	v_mul_f32_e32 v134, v23, v134                              // 000000005C58: 0B0D0D17
	v_mul_f32_e32 v135, v23, v135                              // 000000005C5C: 0B0F0F17
	v_cvt_i32_f32_e32 v132, v132                               // 000000005C60: 7F081184
	v_cvt_i32_f32_e32 v133, v133                               // 000000005C64: 7F0A1185
	v_cvt_i32_f32_e32 v134, v134                               // 000000005C68: 7F0C1186
	v_cvt_i32_f32_e32 v135, v135                               // 000000005C6C: 7F0E1187
	v_perm_b32 v129, v133, v132, s53                           // 000000005C70: D1ED0081 00D70985
	v_perm_b32 v129, v134, v129, s54                           // 000000005C78: D1ED0081 00DB0386
	v_perm_b32 v129, v135, v129, s55                           // 000000005C80: D1ED0081 00DF0387
	v_mul_f32_e32 v136, v22, v136                              // 000000005C88: 0B111116
	v_mul_f32_e32 v137, v22, v137                              // 000000005C8C: 0B131316
	v_mul_f32_e32 v138, v22, v138                              // 000000005C90: 0B151516
	v_mul_f32_e32 v139, v22, v139                              // 000000005C94: 0B171716
	v_cvt_i32_f32_e32 v136, v136                               // 000000005C98: 7F101188
	v_cvt_i32_f32_e32 v137, v137                               // 000000005C9C: 7F121189
	v_cvt_i32_f32_e32 v138, v138                               // 000000005CA0: 7F14118A
	v_cvt_i32_f32_e32 v139, v139                               // 000000005CA4: 7F16118B
	v_perm_b32 v130, v137, v136, s53                           // 000000005CA8: D1ED0082 00D71189
	v_perm_b32 v130, v138, v130, s54                           // 000000005CB0: D1ED0082 00DB058A
	v_perm_b32 v130, v139, v130, s55                           // 000000005CB8: D1ED0082 00DF058B
	v_mul_f32_e32 v140, v23, v140                              // 000000005CC0: 0B191917
	v_mul_f32_e32 v141, v23, v141                              // 000000005CC4: 0B1B1B17
	v_mul_f32_e32 v142, v23, v142                              // 000000005CC8: 0B1D1D17
	v_mul_f32_e32 v143, v23, v143                              // 000000005CCC: 0B1F1F17
	v_cvt_i32_f32_e32 v140, v140                               // 000000005CD0: 7F18118C
	v_cvt_i32_f32_e32 v141, v141                               // 000000005CD4: 7F1A118D
	v_cvt_i32_f32_e32 v142, v142                               // 000000005CD8: 7F1C118E
	v_cvt_i32_f32_e32 v143, v143                               // 000000005CDC: 7F1E118F
	v_perm_b32 v131, v141, v140, s53                           // 000000005CE0: D1ED0083 00D7198D
	v_perm_b32 v131, v142, v131, s54                           // 000000005CE8: D1ED0083 00DB078E
	v_perm_b32 v131, v143, v131, s55                           // 000000005CF0: D1ED0083 00DF078F
	v_mul_f32_e32 v144, v22, v144                              // 000000005CF8: 0B212116
	v_mul_f32_e32 v145, v22, v145                              // 000000005CFC: 0B232316
	v_mul_f32_e32 v146, v22, v146                              // 000000005D00: 0B252516
	v_mul_f32_e32 v147, v22, v147                              // 000000005D04: 0B272716
	v_cvt_i32_f32_e32 v144, v144                               // 000000005D08: 7F201190
	v_cvt_i32_f32_e32 v145, v145                               // 000000005D0C: 7F221191
	v_cvt_i32_f32_e32 v146, v146                               // 000000005D10: 7F241192
	v_cvt_i32_f32_e32 v147, v147                               // 000000005D14: 7F261193
	v_perm_b32 v132, v145, v144, s53                           // 000000005D18: D1ED0084 00D72191
	v_perm_b32 v132, v146, v132, s54                           // 000000005D20: D1ED0084 00DB0992
	v_perm_b32 v132, v147, v132, s55                           // 000000005D28: D1ED0084 00DF0993
	v_mul_f32_e32 v148, v23, v148                              // 000000005D30: 0B292917
	v_mul_f32_e32 v149, v23, v149                              // 000000005D34: 0B2B2B17
	v_mul_f32_e32 v150, v23, v150                              // 000000005D38: 0B2D2D17
	v_mul_f32_e32 v151, v23, v151                              // 000000005D3C: 0B2F2F17
	v_cvt_i32_f32_e32 v148, v148                               // 000000005D40: 7F281194
	v_cvt_i32_f32_e32 v149, v149                               // 000000005D44: 7F2A1195
	v_cvt_i32_f32_e32 v150, v150                               // 000000005D48: 7F2C1196
	v_cvt_i32_f32_e32 v151, v151                               // 000000005D4C: 7F2E1197
	v_perm_b32 v133, v149, v148, s53                           // 000000005D50: D1ED0085 00D72995
	v_perm_b32 v133, v150, v133, s54                           // 000000005D58: D1ED0085 00DB0B96
	v_perm_b32 v133, v151, v133, s55                           // 000000005D60: D1ED0085 00DF0B97
	v_mul_f32_e32 v152, v22, v152                              // 000000005D68: 0B313116
	v_mul_f32_e32 v153, v22, v153                              // 000000005D6C: 0B333316
	v_mul_f32_e32 v154, v22, v154                              // 000000005D70: 0B353516
	v_mul_f32_e32 v155, v22, v155                              // 000000005D74: 0B373716
	v_cvt_i32_f32_e32 v152, v152                               // 000000005D78: 7F301198
	v_cvt_i32_f32_e32 v153, v153                               // 000000005D7C: 7F321199
	v_cvt_i32_f32_e32 v154, v154                               // 000000005D80: 7F34119A
	v_cvt_i32_f32_e32 v155, v155                               // 000000005D84: 7F36119B
	v_perm_b32 v134, v153, v152, s53                           // 000000005D88: D1ED0086 00D73199
	v_perm_b32 v134, v154, v134, s54                           // 000000005D90: D1ED0086 00DB0D9A
	v_perm_b32 v134, v155, v134, s55                           // 000000005D98: D1ED0086 00DF0D9B
	v_mul_f32_e32 v156, v23, v156                              // 000000005DA0: 0B393917
	v_mul_f32_e32 v157, v23, v157                              // 000000005DA4: 0B3B3B17
	v_mul_f32_e32 v158, v23, v158                              // 000000005DA8: 0B3D3D17
	v_mul_f32_e32 v159, v23, v159                              // 000000005DAC: 0B3F3F17
	v_cvt_i32_f32_e32 v156, v156                               // 000000005DB0: 7F38119C
	v_cvt_i32_f32_e32 v157, v157                               // 000000005DB4: 7F3A119D
	v_cvt_i32_f32_e32 v158, v158                               // 000000005DB8: 7F3C119E
	v_cvt_i32_f32_e32 v159, v159                               // 000000005DBC: 7F3E119F
	v_perm_b32 v135, v157, v156, s53                           // 000000005DC0: D1ED0087 00D7399D
	v_perm_b32 v135, v158, v135, s54                           // 000000005DC8: D1ED0087 00DB0F9E
	v_perm_b32 v135, v159, v135, s55                           // 000000005DD0: D1ED0087 00DF0F9F
	v_mul_f32_e32 v160, v22, v160                              // 000000005DD8: 0B414116
	v_mul_f32_e32 v161, v22, v161                              // 000000005DDC: 0B434316
	v_mul_f32_e32 v162, v22, v162                              // 000000005DE0: 0B454516
	v_mul_f32_e32 v163, v22, v163                              // 000000005DE4: 0B474716
	v_cvt_i32_f32_e32 v160, v160                               // 000000005DE8: 7F4011A0
	v_cvt_i32_f32_e32 v161, v161                               // 000000005DEC: 7F4211A1
	v_cvt_i32_f32_e32 v162, v162                               // 000000005DF0: 7F4411A2
	v_cvt_i32_f32_e32 v163, v163                               // 000000005DF4: 7F4611A3
	v_perm_b32 v136, v161, v160, s53                           // 000000005DF8: D1ED0088 00D741A1
	v_perm_b32 v136, v162, v136, s54                           // 000000005E00: D1ED0088 00DB11A2
	v_perm_b32 v136, v163, v136, s55                           // 000000005E08: D1ED0088 00DF11A3
	v_mul_f32_e32 v164, v23, v164                              // 000000005E10: 0B494917
	v_mul_f32_e32 v165, v23, v165                              // 000000005E14: 0B4B4B17
	v_mul_f32_e32 v166, v23, v166                              // 000000005E18: 0B4D4D17
	v_mul_f32_e32 v167, v23, v167                              // 000000005E1C: 0B4F4F17
	v_cvt_i32_f32_e32 v164, v164                               // 000000005E20: 7F4811A4
	v_cvt_i32_f32_e32 v165, v165                               // 000000005E24: 7F4A11A5
	v_cvt_i32_f32_e32 v166, v166                               // 000000005E28: 7F4C11A6
	v_cvt_i32_f32_e32 v167, v167                               // 000000005E2C: 7F4E11A7
	v_perm_b32 v137, v165, v164, s53                           // 000000005E30: D1ED0089 00D749A5
	v_perm_b32 v137, v166, v137, s54                           // 000000005E38: D1ED0089 00DB13A6
	v_perm_b32 v137, v167, v137, s55                           // 000000005E40: D1ED0089 00DF13A7
	v_mul_f32_e32 v168, v22, v168                              // 000000005E48: 0B515116
	v_mul_f32_e32 v169, v22, v169                              // 000000005E4C: 0B535316
	v_mul_f32_e32 v170, v22, v170                              // 000000005E50: 0B555516
	v_mul_f32_e32 v171, v22, v171                              // 000000005E54: 0B575716
	v_cvt_i32_f32_e32 v168, v168                               // 000000005E58: 7F5011A8
	v_cvt_i32_f32_e32 v169, v169                               // 000000005E5C: 7F5211A9
	v_cvt_i32_f32_e32 v170, v170                               // 000000005E60: 7F5411AA
	v_cvt_i32_f32_e32 v171, v171                               // 000000005E64: 7F5611AB
	v_perm_b32 v138, v169, v168, s53                           // 000000005E68: D1ED008A 00D751A9
	v_perm_b32 v138, v170, v138, s54                           // 000000005E70: D1ED008A 00DB15AA
	v_perm_b32 v138, v171, v138, s55                           // 000000005E78: D1ED008A 00DF15AB
	v_mul_f32_e32 v172, v23, v172                              // 000000005E80: 0B595917
	v_mul_f32_e32 v173, v23, v173                              // 000000005E84: 0B5B5B17
	v_mul_f32_e32 v174, v23, v174                              // 000000005E88: 0B5D5D17
	v_mul_f32_e32 v175, v23, v175                              // 000000005E8C: 0B5F5F17
	v_cvt_i32_f32_e32 v172, v172                               // 000000005E90: 7F5811AC
	v_cvt_i32_f32_e32 v173, v173                               // 000000005E94: 7F5A11AD
	v_cvt_i32_f32_e32 v174, v174                               // 000000005E98: 7F5C11AE
	v_cvt_i32_f32_e32 v175, v175                               // 000000005E9C: 7F5E11AF
	v_perm_b32 v139, v173, v172, s53                           // 000000005EA0: D1ED008B 00D759AD
	v_perm_b32 v139, v174, v139, s54                           // 000000005EA8: D1ED008B 00DB17AE
	v_perm_b32 v139, v175, v139, s55                           // 000000005EB0: D1ED008B 00DF17AF
	v_rcp_f32_e32 v24, v22                                     // 000000005EB8: 7E304516
	v_rcp_f32_e32 v25, v23                                     // 000000005EBC: 7E324517
	v_lshrrev_b32_e32 v50, 5, v0                               // 000000005EC0: 20640085
	v_lshlrev_b32_e32 v51, 5, v50                              // 000000005EC4: 24666485
	v_and_b32_e32 v50, 31, v0                                  // 000000005EC8: 2664009F
	v_lshrrev_b32_e32 v52, 4, v50                              // 000000005ECC: 20686484
	v_add_u32_e32 v51, v52, v51                                // 000000005ED0: 68666734
	v_and_b32_e32 v50, 15, v0                                  // 000000005ED4: 2664008F
	v_lshlrev_b32_e32 v50, 1, v50                              // 000000005ED8: 24646481
	v_add_u32_e32 v51, v50, v51                                // 000000005EDC: 68666732
	v_lshlrev_b32_e32 v50, 2, v51                              // 000000005EE0: 24646682
	s_mul_i32 s60, 0x100, s7                                   // 000000005EE4: 923C07FF 00000100
	v_add_u32_e64 v50, v50, s60                                // 000000005EEC: D1340032 00007932
	ds_write_b32 v50, v128 offset:18688                        // 000000005EF4: D81A4900 00008032
	ds_write_b32 v50, v129 offset:24832                        // 000000005EFC: D81A6100 00008132
	ds_write_b32 v50, v130 offset:19712                        // 000000005F04: D81A4D00 00008232
	ds_write_b32 v50, v131 offset:25856                        // 000000005F0C: D81A6500 00008332
	ds_write_b32 v50, v132 offset:20736                        // 000000005F14: D81A5100 00008432
	ds_write_b32 v50, v133 offset:26880                        // 000000005F1C: D81A6900 00008532
	ds_write_b32 v50, v134 offset:21760                        // 000000005F24: D81A5500 00008632
	ds_write_b32 v50, v135 offset:27904                        // 000000005F2C: D81A6D00 00008732
	ds_write_b32 v50, v136 offset:22784                        // 000000005F34: D81A5900 00008832
	ds_write_b32 v50, v137 offset:28928                        // 000000005F3C: D81A7100 00008932
	ds_write_b32 v50, v138 offset:23808                        // 000000005F44: D81A5D00 00008A32
	ds_write_b32 v50, v139 offset:29952                        // 000000005F4C: D81A7500 00008B32
	s_waitcnt lgkmcnt(0)                                       // 000000005F54: BF8CC07F
	s_barrier                                                  // 000000005F58: BF8A0000
	v_lshrrev_b32_e32 v50, 4, v0                               // 000000005F5C: 20640084
	v_lshlrev_b32_e32 v51, 6, v50                              // 000000005F60: 24666486
	v_and_b32_e32 v50, 15, v0                                  // 000000005F64: 2664008F
	v_lshlrev_b32_e32 v50, 1, v50                              // 000000005F68: 24646481
	v_add_u32_e32 v51, v50, v51                                // 000000005F6C: 68666732
	v_lshlrev_b32_e32 v50, 2, v51                              // 000000005F70: 24646682
	ds_read_b64 v[128:129], v50 offset:18688                   // 000000005F74: D8EC4900 80000032
	ds_read_b64 v[130:131], v50 offset:18816                   // 000000005F7C: D8EC4980 82000032
	ds_read_b64 v[132:133], v50 offset:19712                   // 000000005F84: D8EC4D00 84000032
	ds_read_b64 v[134:135], v50 offset:19840                   // 000000005F8C: D8EC4D80 86000032
	ds_read_b64 v[136:137], v50 offset:20736                   // 000000005F94: D8EC5100 88000032
	ds_read_b64 v[138:139], v50 offset:20864                   // 000000005F9C: D8EC5180 8A000032
	ds_read_b64 v[140:141], v50 offset:21760                   // 000000005FA4: D8EC5500 8C000032
	ds_read_b64 v[142:143], v50 offset:21888                   // 000000005FAC: D8EC5580 8E000032
	ds_read_b64 v[144:145], v50 offset:22784                   // 000000005FB4: D8EC5900 90000032
	ds_read_b64 v[146:147], v50 offset:22912                   // 000000005FBC: D8EC5980 92000032
	ds_read_b64 v[148:149], v50 offset:23808                   // 000000005FC4: D8EC5D00 94000032
	ds_read_b64 v[150:151], v50 offset:23936                   // 000000005FCC: D8EC5D80 96000032
	ds_read_b64 v[152:153], v50 offset:24832                   // 000000005FD4: D8EC6100 98000032
	ds_read_b64 v[154:155], v50 offset:24960                   // 000000005FDC: D8EC6180 9A000032
	ds_read_b64 v[156:157], v50 offset:25856                   // 000000005FE4: D8EC6500 9C000032
	ds_read_b64 v[158:159], v50 offset:25984                   // 000000005FEC: D8EC6580 9E000032
	ds_read_b64 v[160:161], v50 offset:26880                   // 000000005FF4: D8EC6900 A0000032
	ds_read_b64 v[162:163], v50 offset:27008                   // 000000005FFC: D8EC6980 A2000032
	ds_read_b64 v[164:165], v50 offset:27904                   // 000000006004: D8EC6D00 A4000032
	ds_read_b64 v[166:167], v50 offset:28032                   // 00000000600C: D8EC6D80 A6000032
	ds_read_b64 v[168:169], v50 offset:28928                   // 000000006014: D8EC7100 A8000032
	ds_read_b64 v[170:171], v50 offset:29056                   // 00000000601C: D8EC7180 AA000032
	ds_read_b64 v[172:173], v50 offset:29952                   // 000000006024: D8EC7500 AC000032
	ds_read_b64 v[174:175], v50 offset:30080                   // 00000000602C: D8EC7580 AE000032
	s_add_u32 s12, s56, s12                                    // 000000006034: 800C0C38
	s_addc_u32 s13, 0, s13                                     // 000000006038: 820D0D80
	s_add_u32 s16, s79, s16                                    // 00000000603C: 8010104F
	s_addc_u32 s17, 0, s17                                     // 000000006040: 82111180
	s_mov_b32 s80, 0                                           // 000000006044: BED00080
	s_waitcnt vmcnt(0) expcnt(0) lgkmcnt(0)                    // 000000006048: BF8C0000

000000000000604c <label_0C93>:
	s_waitcnt vmcnt(37)                                        // 00000000604C: BF8C8F75
	s_barrier                                                  // 000000006050: BF8A0000
	v_mfma_i32_16x16x32_i8 v[176:179], a[0:1], v[128:129], 0   // 000000006054: D3D700B0 0A030100
	v_mfma_i32_16x16x32_i8 v[176:179], a[2:3], v[130:131], v[176:179]// 00000000605C: D3D700B0 0EC30502
	buffer_load_dwordx4 a[96:99], v40, s[12:15], 0 offen       // 000000006064: E05C1000 80836028
	v_mfma_i32_16x16x32_i8 v[180:183], a[0:1], v[152:153], 0   // 00000000606C: D3D700B4 0A033100
	v_mfma_i32_16x16x32_i8 v[180:183], a[2:3], v[154:155], v[180:183]// 000000006074: D3D700B4 0ED33502
	v_mfma_i32_16x16x32_i8 v[184:187], a[4:5], v[128:129], 0   // 00000000607C: D3D700B8 0A030104
	v_mfma_i32_16x16x32_i8 v[184:187], a[6:7], v[130:131], v[184:187]// 000000006084: D3D700B8 0EE30506
	buffer_load_dwordx4 a[100:103], v41, s[12:15], 0 offen     // 00000000608C: E05C1000 80836429
	v_mfma_i32_16x16x32_i8 v[188:191], a[4:5], v[152:153], 0   // 000000006094: D3D700BC 0A033104
	v_mfma_i32_16x16x32_i8 v[188:191], a[6:7], v[154:155], v[188:191]// 00000000609C: D3D700BC 0EF33506
	v_mfma_i32_16x16x32_i8 v[192:195], a[8:9], v[128:129], 0   // 0000000060A4: D3D700C0 0A030108
	v_mfma_i32_16x16x32_i8 v[192:195], a[10:11], v[130:131], v[192:195]// 0000000060AC: D3D700C0 0F03050A
	buffer_load_dwordx4 a[104:107], v42, s[12:15], 0 offen     // 0000000060B4: E05C1000 8083682A
	v_mfma_i32_16x16x32_i8 v[196:199], a[8:9], v[152:153], 0   // 0000000060BC: D3D700C4 0A033108
	v_mfma_i32_16x16x32_i8 v[196:199], a[10:11], v[154:155], v[196:199]// 0000000060C4: D3D700C4 0F13350A
	v_mfma_i32_16x16x32_i8 v[200:203], a[12:13], v[128:129], 0 // 0000000060CC: D3D700C8 0A03010C
	v_mfma_i32_16x16x32_i8 v[200:203], a[14:15], v[130:131], v[200:203]// 0000000060D4: D3D700C8 0F23050E
	buffer_load_dwordx4 a[108:111], v43, s[12:15], 0 offen     // 0000000060DC: E05C1000 80836C2B
	s_add_u32 s12, s78, s12                                    // 0000000060E4: 800C0C4E
	s_addc_u32 s13, 0, s13                                     // 0000000060E8: 820D0D80
	v_mfma_i32_16x16x32_i8 v[204:207], a[12:13], v[152:153], 0 // 0000000060EC: D3D700CC 0A03310C
	v_mfma_i32_16x16x32_i8 v[204:207], a[14:15], v[154:155], v[204:207]// 0000000060F4: D3D700CC 0F33350E
	s_waitcnt vmcnt(37)                                        // 0000000060FC: BF8C8F75
	v_mfma_i32_16x16x32_i8 v[176:179], a[16:17], v[132:133], v[176:179]// 000000006100: D3D700B0 0EC30910
	v_mfma_i32_16x16x32_i8 v[176:179], a[18:19], v[134:135], v[176:179]// 000000006108: D3D700B0 0EC30D12
	buffer_load_dwordx4 a[112:115], v40, s[12:15], 0 offen     // 000000006110: E05C1000 80837028
	v_mfma_i32_16x16x32_i8 v[180:183], a[16:17], v[156:157], v[180:183]// 000000006118: D3D700B4 0ED33910
	v_mfma_i32_16x16x32_i8 v[180:183], a[18:19], v[158:159], v[180:183]// 000000006120: D3D700B4 0ED33D12
	v_mfma_i32_16x16x32_i8 v[184:187], a[20:21], v[132:133], v[184:187]// 000000006128: D3D700B8 0EE30914
	v_mfma_i32_16x16x32_i8 v[184:187], a[22:23], v[134:135], v[184:187]// 000000006130: D3D700B8 0EE30D16
	buffer_load_dwordx4 a[116:119], v41, s[12:15], 0 offen     // 000000006138: E05C1000 80837429
	v_mfma_i32_16x16x32_i8 v[188:191], a[20:21], v[156:157], v[188:191]// 000000006140: D3D700BC 0EF33914
	v_mfma_i32_16x16x32_i8 v[188:191], a[22:23], v[158:159], v[188:191]// 000000006148: D3D700BC 0EF33D16
	v_mfma_i32_16x16x32_i8 v[192:195], a[24:25], v[132:133], v[192:195]// 000000006150: D3D700C0 0F030918
	v_mfma_i32_16x16x32_i8 v[192:195], a[26:27], v[134:135], v[192:195]// 000000006158: D3D700C0 0F030D1A
	buffer_load_dwordx4 a[120:123], v42, s[12:15], 0 offen     // 000000006160: E05C1000 8083782A
	v_mfma_i32_16x16x32_i8 v[196:199], a[24:25], v[156:157], v[196:199]// 000000006168: D3D700C4 0F133918
	v_mfma_i32_16x16x32_i8 v[196:199], a[26:27], v[158:159], v[196:199]// 000000006170: D3D700C4 0F133D1A
	v_mfma_i32_16x16x32_i8 v[200:203], a[28:29], v[132:133], v[200:203]// 000000006178: D3D700C8 0F23091C
	v_mfma_i32_16x16x32_i8 v[200:203], a[30:31], v[134:135], v[200:203]// 000000006180: D3D700C8 0F230D1E
	buffer_load_dwordx4 a[124:127], v43, s[12:15], 0 offen     // 000000006188: E05C1000 80837C2B
	s_add_u32 s12, s78, s12                                    // 000000006190: 800C0C4E
	s_addc_u32 s13, 0, s13                                     // 000000006194: 820D0D80
	v_mfma_i32_16x16x32_i8 v[204:207], a[28:29], v[156:157], v[204:207]// 000000006198: D3D700CC 0F33391C
	v_mfma_i32_16x16x32_i8 v[204:207], a[30:31], v[158:159], v[204:207]// 0000000061A0: D3D700CC 0F333D1E
	s_waitcnt vmcnt(37)                                        // 0000000061A8: BF8C8F75
	v_mfma_i32_16x16x32_i8 v[176:179], a[32:33], v[136:137], v[176:179]// 0000000061AC: D3D700B0 0EC31120
	v_mfma_i32_16x16x32_i8 v[176:179], a[34:35], v[138:139], v[176:179]// 0000000061B4: D3D700B0 0EC31522
	buffer_load_dwordx4 a[128:131], v40, s[12:15], 0 offen     // 0000000061BC: E05C1000 80838028
	v_mfma_i32_16x16x32_i8 v[180:183], a[32:33], v[160:161], v[180:183]// 0000000061C4: D3D700B4 0ED34120
	v_mfma_i32_16x16x32_i8 v[180:183], a[34:35], v[162:163], v[180:183]// 0000000061CC: D3D700B4 0ED34522
	v_mfma_i32_16x16x32_i8 v[184:187], a[36:37], v[136:137], v[184:187]// 0000000061D4: D3D700B8 0EE31124
	v_mfma_i32_16x16x32_i8 v[184:187], a[38:39], v[138:139], v[184:187]// 0000000061DC: D3D700B8 0EE31526
	buffer_load_dwordx4 a[132:135], v41, s[12:15], 0 offen     // 0000000061E4: E05C1000 80838429
	v_mfma_i32_16x16x32_i8 v[188:191], a[36:37], v[160:161], v[188:191]// 0000000061EC: D3D700BC 0EF34124
	v_mfma_i32_16x16x32_i8 v[188:191], a[38:39], v[162:163], v[188:191]// 0000000061F4: D3D700BC 0EF34526
	v_mfma_i32_16x16x32_i8 v[192:195], a[40:41], v[136:137], v[192:195]// 0000000061FC: D3D700C0 0F031128
	v_mfma_i32_16x16x32_i8 v[192:195], a[42:43], v[138:139], v[192:195]// 000000006204: D3D700C0 0F03152A
	buffer_load_dwordx4 a[136:139], v42, s[12:15], 0 offen     // 00000000620C: E05C1000 8083882A
	v_mfma_i32_16x16x32_i8 v[196:199], a[40:41], v[160:161], v[196:199]// 000000006214: D3D700C4 0F134128
	v_mfma_i32_16x16x32_i8 v[196:199], a[42:43], v[162:163], v[196:199]// 00000000621C: D3D700C4 0F13452A
	v_mfma_i32_16x16x32_i8 v[200:203], a[44:45], v[136:137], v[200:203]// 000000006224: D3D700C8 0F23112C
	v_mfma_i32_16x16x32_i8 v[200:203], a[46:47], v[138:139], v[200:203]// 00000000622C: D3D700C8 0F23152E
	buffer_load_dwordx4 a[140:143], v43, s[12:15], 0 offen     // 000000006234: E05C1000 80838C2B
	s_add_u32 s12, s78, s12                                    // 00000000623C: 800C0C4E
	s_addc_u32 s13, 0, s13                                     // 000000006240: 820D0D80
	v_mfma_i32_16x16x32_i8 v[204:207], a[44:45], v[160:161], v[204:207]// 000000006244: D3D700CC 0F33412C
	v_mfma_i32_16x16x32_i8 v[204:207], a[46:47], v[162:163], v[204:207]// 00000000624C: D3D700CC 0F33452E
	s_waitcnt vmcnt(37)                                        // 000000006254: BF8C8F75
	v_mfma_i32_16x16x32_i8 v[176:179], a[48:49], v[140:141], v[176:179]// 000000006258: D3D700B0 0EC31930
	v_mfma_i32_16x16x32_i8 v[176:179], a[50:51], v[142:143], v[176:179]// 000000006260: D3D700B0 0EC31D32
	buffer_load_dwordx4 a[144:147], v40, s[12:15], 0 offen     // 000000006268: E05C1000 80839028
	v_mfma_i32_16x16x32_i8 v[180:183], a[48:49], v[164:165], v[180:183]// 000000006270: D3D700B4 0ED34930
	v_mfma_i32_16x16x32_i8 v[180:183], a[50:51], v[166:167], v[180:183]// 000000006278: D3D700B4 0ED34D32
	v_mfma_i32_16x16x32_i8 v[184:187], a[52:53], v[140:141], v[184:187]// 000000006280: D3D700B8 0EE31934
	v_mfma_i32_16x16x32_i8 v[184:187], a[54:55], v[142:143], v[184:187]// 000000006288: D3D700B8 0EE31D36
	buffer_load_dwordx4 a[148:151], v41, s[12:15], 0 offen     // 000000006290: E05C1000 80839429
	v_mfma_i32_16x16x32_i8 v[188:191], a[52:53], v[164:165], v[188:191]// 000000006298: D3D700BC 0EF34934
	v_mfma_i32_16x16x32_i8 v[188:191], a[54:55], v[166:167], v[188:191]// 0000000062A0: D3D700BC 0EF34D36
	v_mfma_i32_16x16x32_i8 v[192:195], a[56:57], v[140:141], v[192:195]// 0000000062A8: D3D700C0 0F031938
	v_mfma_i32_16x16x32_i8 v[192:195], a[58:59], v[142:143], v[192:195]// 0000000062B0: D3D700C0 0F031D3A
	buffer_load_dwordx4 a[152:155], v42, s[12:15], 0 offen     // 0000000062B8: E05C1000 8083982A
	v_mfma_i32_16x16x32_i8 v[196:199], a[56:57], v[164:165], v[196:199]// 0000000062C0: D3D700C4 0F134938
	v_mfma_i32_16x16x32_i8 v[196:199], a[58:59], v[166:167], v[196:199]// 0000000062C8: D3D700C4 0F134D3A
	v_mfma_i32_16x16x32_i8 v[200:203], a[60:61], v[140:141], v[200:203]// 0000000062D0: D3D700C8 0F23193C
	v_mfma_i32_16x16x32_i8 v[200:203], a[62:63], v[142:143], v[200:203]// 0000000062D8: D3D700C8 0F231D3E
	buffer_load_dwordx4 a[156:159], v43, s[12:15], 0 offen     // 0000000062E0: E05C1000 80839C2B
	s_add_u32 s12, s78, s12                                    // 0000000062E8: 800C0C4E
	s_addc_u32 s13, 0, s13                                     // 0000000062EC: 820D0D80
	v_mfma_i32_16x16x32_i8 v[204:207], a[60:61], v[164:165], v[204:207]// 0000000062F0: D3D700CC 0F33493C
	v_mfma_i32_16x16x32_i8 v[204:207], a[62:63], v[166:167], v[204:207]// 0000000062F8: D3D700CC 0F334D3E
	s_waitcnt vmcnt(37)                                        // 000000006300: BF8C8F75
	v_mfma_i32_16x16x32_i8 v[176:179], a[64:65], v[144:145], v[176:179]// 000000006304: D3D700B0 0EC32140
	v_mfma_i32_16x16x32_i8 v[176:179], a[66:67], v[146:147], v[176:179]// 00000000630C: D3D700B0 0EC32542
	buffer_load_dwordx4 a[160:163], v40, s[12:15], 0 offen     // 000000006314: E05C1000 8083A028
	v_mfma_i32_16x16x32_i8 v[180:183], a[64:65], v[168:169], v[180:183]// 00000000631C: D3D700B4 0ED35140
	v_mfma_i32_16x16x32_i8 v[180:183], a[66:67], v[170:171], v[180:183]// 000000006324: D3D700B4 0ED35542
	v_mfma_i32_16x16x32_i8 v[184:187], a[68:69], v[144:145], v[184:187]// 00000000632C: D3D700B8 0EE32144
	v_mfma_i32_16x16x32_i8 v[184:187], a[70:71], v[146:147], v[184:187]// 000000006334: D3D700B8 0EE32546
	buffer_load_dwordx4 a[164:167], v41, s[12:15], 0 offen     // 00000000633C: E05C1000 8083A429
	v_mfma_i32_16x16x32_i8 v[188:191], a[68:69], v[168:169], v[188:191]// 000000006344: D3D700BC 0EF35144
	v_mfma_i32_16x16x32_i8 v[188:191], a[70:71], v[170:171], v[188:191]// 00000000634C: D3D700BC 0EF35546
	v_mfma_i32_16x16x32_i8 v[192:195], a[72:73], v[144:145], v[192:195]// 000000006354: D3D700C0 0F032148
	v_mfma_i32_16x16x32_i8 v[192:195], a[74:75], v[146:147], v[192:195]// 00000000635C: D3D700C0 0F03254A
	buffer_load_dwordx4 a[168:171], v42, s[12:15], 0 offen     // 000000006364: E05C1000 8083A82A
	v_mfma_i32_16x16x32_i8 v[196:199], a[72:73], v[168:169], v[196:199]// 00000000636C: D3D700C4 0F135148
	v_mfma_i32_16x16x32_i8 v[196:199], a[74:75], v[170:171], v[196:199]// 000000006374: D3D700C4 0F13554A
	v_mfma_i32_16x16x32_i8 v[200:203], a[76:77], v[144:145], v[200:203]// 00000000637C: D3D700C8 0F23214C
	v_mfma_i32_16x16x32_i8 v[200:203], a[78:79], v[146:147], v[200:203]// 000000006384: D3D700C8 0F23254E
	buffer_load_dwordx4 a[172:175], v43, s[12:15], 0 offen     // 00000000638C: E05C1000 8083AC2B
	s_add_u32 s12, s78, s12                                    // 000000006394: 800C0C4E
	s_addc_u32 s13, 0, s13                                     // 000000006398: 820D0D80
	v_mfma_i32_16x16x32_i8 v[204:207], a[76:77], v[168:169], v[204:207]// 00000000639C: D3D700CC 0F33514C
	v_mfma_i32_16x16x32_i8 v[204:207], a[78:79], v[170:171], v[204:207]// 0000000063A4: D3D700CC 0F33554E
	s_waitcnt vmcnt(36)                                        // 0000000063AC: BF8C8F74
	v_mfma_i32_16x16x32_i8 v[176:179], a[80:81], v[148:149], v[176:179]// 0000000063B0: D3D700B0 0EC32950
	v_mfma_i32_16x16x32_i8 v[176:179], a[82:83], v[150:151], v[176:179]// 0000000063B8: D3D700B0 0EC32D52
	buffer_load_dwordx4 a[176:179], v40, s[12:15], 0 offen     // 0000000063C0: E05C1000 8083B028
	v_mfma_i32_16x16x32_i8 v[180:183], a[80:81], v[172:173], v[180:183]// 0000000063C8: D3D700B4 0ED35950
	v_mfma_i32_16x16x32_i8 v[180:183], a[82:83], v[174:175], v[180:183]// 0000000063D0: D3D700B4 0ED35D52
	buffer_load_dword v13, v5, s[16:19], 0 offen               // 0000000063D8: E0501000 80040D05
	v_mfma_i32_16x16x32_i8 v[184:187], a[84:85], v[148:149], v[184:187]// 0000000063E0: D3D700B8 0EE32954
	v_mfma_i32_16x16x32_i8 v[184:187], a[86:87], v[150:151], v[184:187]// 0000000063E8: D3D700B8 0EE32D56
	buffer_load_dwordx4 a[180:183], v41, s[12:15], 0 offen     // 0000000063F0: E05C1000 8083B429
	v_mfma_i32_16x16x32_i8 v[188:191], a[84:85], v[172:173], v[188:191]// 0000000063F8: D3D700BC 0EF35954
	v_mfma_i32_16x16x32_i8 v[188:191], a[86:87], v[174:175], v[188:191]// 000000006400: D3D700BC 0EF35D56
	v_mfma_i32_16x16x32_i8 v[192:195], a[88:89], v[148:149], v[192:195]// 000000006408: D3D700C0 0F032958
	v_mfma_i32_16x16x32_i8 v[192:195], a[90:91], v[150:151], v[192:195]// 000000006410: D3D700C0 0F032D5A
	buffer_load_dwordx4 a[184:187], v42, s[12:15], 0 offen     // 000000006418: E05C1000 8083B82A
	v_mfma_i32_16x16x32_i8 v[196:199], a[88:89], v[172:173], v[196:199]// 000000006420: D3D700C4 0F135958
	v_mfma_i32_16x16x32_i8 v[196:199], a[90:91], v[174:175], v[196:199]// 000000006428: D3D700C4 0F135D5A
	v_mfma_i32_16x16x32_i8 v[200:203], a[92:93], v[148:149], v[200:203]// 000000006430: D3D700C8 0F23295C
	v_mfma_i32_16x16x32_i8 v[200:203], a[94:95], v[150:151], v[200:203]// 000000006438: D3D700C8 0F232D5E
	buffer_load_dwordx4 a[188:191], v43, s[12:15], 0 offen     // 000000006440: E05C1000 8083BC2B
	v_mfma_i32_16x16x32_i8 v[204:207], a[92:93], v[172:173], v[204:207]// 000000006448: D3D700CC 0F33595C
	v_mfma_i32_16x16x32_i8 v[204:207], a[94:95], v[174:175], v[204:207]// 000000006450: D3D700CC 0F335D5E
	s_add_u32 s60, 0x200, s80                                  // 000000006458: 803C50FF 00000200
	s_cmp_lt_u32 s60, s81                                      // 000000006460: BF0A513C
	s_cselect_b32 s56, s56, 0                                  // 000000006464: 85388038
	s_cselect_b32 s78, s78, 0                                  // 000000006468: 854E804E
	s_cselect_b32 s79, s79, 0                                  // 00000000646C: 854F804F
	s_add_u32 s12, s56, s12                                    // 000000006470: 800C0C38
	s_addc_u32 s13, 0, s13                                     // 000000006474: 820D0D80
	s_add_u32 s16, s79, s16                                    // 000000006478: 8010104F
	s_addc_u32 s17, 0, s17                                     // 00000000647C: 82111180
	v_cvt_f32_i32_e32 v176, v176                               // 000000006480: 7F600BB0
	v_cvt_f32_i32_e32 v177, v177                               // 000000006484: 7F620BB1
	v_cvt_f32_i32_e32 v178, v178                               // 000000006488: 7F640BB2
	v_cvt_f32_i32_e32 v179, v179                               // 00000000648C: 7F660BB3
	v_mul_f32_e32 v176, v24, v176                              // 000000006490: 0B616118
	v_mul_f32_e32 v177, v24, v177                              // 000000006494: 0B636318
	v_mul_f32_e32 v178, v24, v178                              // 000000006498: 0B656518
	v_mul_f32_e32 v179, v24, v179                              // 00000000649C: 0B676718
	v_mul_f32_dpp v176, v12, v176 row_newbcast:0 row_mask:0xf bank_mask:0xf// 0000000064A0: 0B6160FA FF01500C
	v_mul_f32_dpp v177, v12, v177 row_newbcast:1 row_mask:0xf bank_mask:0xf// 0000000064A8: 0B6362FA FF01510C
	v_mul_f32_dpp v178, v12, v178 row_newbcast:2 row_mask:0xf bank_mask:0xf// 0000000064B0: 0B6564FA FF01520C
	v_mul_f32_dpp v179, v12, v179 row_newbcast:3 row_mask:0xf bank_mask:0xf// 0000000064B8: 0B6766FA FF01530C
	v_mul_f32_e32 v176, v20, v176                              // 0000000064C0: 0B616114
	v_mul_f32_e32 v177, v20, v177                              // 0000000064C4: 0B636314
	v_mul_f32_e32 v178, v20, v178                              // 0000000064C8: 0B656514
	v_mul_f32_e32 v179, v20, v179                              // 0000000064CC: 0B676714
	v_cvt_f32_i32_e32 v180, v180                               // 0000000064D0: 7F680BB4
	v_cvt_f32_i32_e32 v181, v181                               // 0000000064D4: 7F6A0BB5
	v_cvt_f32_i32_e32 v182, v182                               // 0000000064D8: 7F6C0BB6
	v_cvt_f32_i32_e32 v183, v183                               // 0000000064DC: 7F6E0BB7
	v_mul_f32_e32 v180, v25, v180                              // 0000000064E0: 0B696919
	v_mul_f32_e32 v181, v25, v181                              // 0000000064E4: 0B6B6B19
	v_mul_f32_e32 v182, v25, v182                              // 0000000064E8: 0B6D6D19
	v_mul_f32_e32 v183, v25, v183                              // 0000000064EC: 0B6F6F19
	v_mul_f32_dpp v180, v12, v180 row_newbcast:0 row_mask:0xf bank_mask:0xf// 0000000064F0: 0B6968FA FF01500C
	v_mul_f32_dpp v181, v12, v181 row_newbcast:1 row_mask:0xf bank_mask:0xf// 0000000064F8: 0B6B6AFA FF01510C
	v_mul_f32_dpp v182, v12, v182 row_newbcast:2 row_mask:0xf bank_mask:0xf// 000000006500: 0B6D6CFA FF01520C
	v_mul_f32_dpp v183, v12, v183 row_newbcast:3 row_mask:0xf bank_mask:0xf// 000000006508: 0B6F6EFA FF01530C
	v_mul_f32_e32 v180, v21, v180                              // 000000006510: 0B696915
	v_mul_f32_e32 v181, v21, v181                              // 000000006514: 0B6B6B15
	v_mul_f32_e32 v182, v21, v182                              // 000000006518: 0B6D6D15
	v_mul_f32_e32 v183, v21, v183                              // 00000000651C: 0B6F6F15
	v_cvt_f32_i32_e32 v184, v184                               // 000000006520: 7F700BB8
	v_cvt_f32_i32_e32 v185, v185                               // 000000006524: 7F720BB9
	v_cvt_f32_i32_e32 v186, v186                               // 000000006528: 7F740BBA
	v_cvt_f32_i32_e32 v187, v187                               // 00000000652C: 7F760BBB
	v_mul_f32_e32 v184, v24, v184                              // 000000006530: 0B717118
	v_mul_f32_e32 v185, v24, v185                              // 000000006534: 0B737318
	v_mul_f32_e32 v186, v24, v186                              // 000000006538: 0B757518
	v_mul_f32_e32 v187, v24, v187                              // 00000000653C: 0B777718
	v_mul_f32_dpp v184, v12, v184 row_newbcast:4 row_mask:0xf bank_mask:0xf// 000000006540: 0B7170FA FF01540C
	v_mul_f32_dpp v185, v12, v185 row_newbcast:5 row_mask:0xf bank_mask:0xf// 000000006548: 0B7372FA FF01550C
	v_mul_f32_dpp v186, v12, v186 row_newbcast:6 row_mask:0xf bank_mask:0xf// 000000006550: 0B7574FA FF01560C
	v_mul_f32_dpp v187, v12, v187 row_newbcast:7 row_mask:0xf bank_mask:0xf// 000000006558: 0B7776FA FF01570C
	v_mul_f32_e32 v184, v20, v184                              // 000000006560: 0B717114
	v_mul_f32_e32 v185, v20, v185                              // 000000006564: 0B737314
	v_mul_f32_e32 v186, v20, v186                              // 000000006568: 0B757514
	v_mul_f32_e32 v187, v20, v187                              // 00000000656C: 0B777714
	v_cvt_f32_i32_e32 v188, v188                               // 000000006570: 7F780BBC
	v_cvt_f32_i32_e32 v189, v189                               // 000000006574: 7F7A0BBD
	v_cvt_f32_i32_e32 v190, v190                               // 000000006578: 7F7C0BBE
	v_cvt_f32_i32_e32 v191, v191                               // 00000000657C: 7F7E0BBF
	v_mul_f32_e32 v188, v25, v188                              // 000000006580: 0B797919
	v_mul_f32_e32 v189, v25, v189                              // 000000006584: 0B7B7B19
	v_mul_f32_e32 v190, v25, v190                              // 000000006588: 0B7D7D19
	v_mul_f32_e32 v191, v25, v191                              // 00000000658C: 0B7F7F19
	v_mul_f32_dpp v188, v12, v188 row_newbcast:4 row_mask:0xf bank_mask:0xf// 000000006590: 0B7978FA FF01540C
	v_mul_f32_dpp v189, v12, v189 row_newbcast:5 row_mask:0xf bank_mask:0xf// 000000006598: 0B7B7AFA FF01550C
	v_mul_f32_dpp v190, v12, v190 row_newbcast:6 row_mask:0xf bank_mask:0xf// 0000000065A0: 0B7D7CFA FF01560C
	v_mul_f32_dpp v191, v12, v191 row_newbcast:7 row_mask:0xf bank_mask:0xf// 0000000065A8: 0B7F7EFA FF01570C
	v_mul_f32_e32 v188, v21, v188                              // 0000000065B0: 0B797915
	v_mul_f32_e32 v189, v21, v189                              // 0000000065B4: 0B7B7B15
	v_mul_f32_e32 v190, v21, v190                              // 0000000065B8: 0B7D7D15
	v_mul_f32_e32 v191, v21, v191                              // 0000000065BC: 0B7F7F15
	v_cvt_f32_i32_e32 v192, v192                               // 0000000065C0: 7F800BC0
	v_cvt_f32_i32_e32 v193, v193                               // 0000000065C4: 7F820BC1
	v_cvt_f32_i32_e32 v194, v194                               // 0000000065C8: 7F840BC2
	v_cvt_f32_i32_e32 v195, v195                               // 0000000065CC: 7F860BC3
	v_mul_f32_e32 v192, v24, v192                              // 0000000065D0: 0B818118
	v_mul_f32_e32 v193, v24, v193                              // 0000000065D4: 0B838318
	v_mul_f32_e32 v194, v24, v194                              // 0000000065D8: 0B858518
	v_mul_f32_e32 v195, v24, v195                              // 0000000065DC: 0B878718
	v_mul_f32_dpp v192, v12, v192 row_newbcast:8 row_mask:0xf bank_mask:0xf// 0000000065E0: 0B8180FA FF01580C
	v_mul_f32_dpp v193, v12, v193 row_newbcast:9 row_mask:0xf bank_mask:0xf// 0000000065E8: 0B8382FA FF01590C
	v_mul_f32_dpp v194, v12, v194 row_newbcast:10 row_mask:0xf bank_mask:0xf// 0000000065F0: 0B8584FA FF015A0C
	v_mul_f32_dpp v195, v12, v195 row_newbcast:11 row_mask:0xf bank_mask:0xf// 0000000065F8: 0B8786FA FF015B0C
	v_mul_f32_e32 v192, v20, v192                              // 000000006600: 0B818114
	v_mul_f32_e32 v193, v20, v193                              // 000000006604: 0B838314
	v_mul_f32_e32 v194, v20, v194                              // 000000006608: 0B858514
	v_mul_f32_e32 v195, v20, v195                              // 00000000660C: 0B878714
	v_cvt_f32_i32_e32 v196, v196                               // 000000006610: 7F880BC4
	v_cvt_f32_i32_e32 v197, v197                               // 000000006614: 7F8A0BC5
	v_cvt_f32_i32_e32 v198, v198                               // 000000006618: 7F8C0BC6
	v_cvt_f32_i32_e32 v199, v199                               // 00000000661C: 7F8E0BC7
	v_mul_f32_e32 v196, v25, v196                              // 000000006620: 0B898919
	v_mul_f32_e32 v197, v25, v197                              // 000000006624: 0B8B8B19
	v_mul_f32_e32 v198, v25, v198                              // 000000006628: 0B8D8D19
	v_mul_f32_e32 v199, v25, v199                              // 00000000662C: 0B8F8F19
	v_mul_f32_dpp v196, v12, v196 row_newbcast:8 row_mask:0xf bank_mask:0xf// 000000006630: 0B8988FA FF01580C
	v_mul_f32_dpp v197, v12, v197 row_newbcast:9 row_mask:0xf bank_mask:0xf// 000000006638: 0B8B8AFA FF01590C
	v_mul_f32_dpp v198, v12, v198 row_newbcast:10 row_mask:0xf bank_mask:0xf// 000000006640: 0B8D8CFA FF015A0C
	v_mul_f32_dpp v199, v12, v199 row_newbcast:11 row_mask:0xf bank_mask:0xf// 000000006648: 0B8F8EFA FF015B0C
	v_mul_f32_e32 v196, v21, v196                              // 000000006650: 0B898915
	v_mul_f32_e32 v197, v21, v197                              // 000000006654: 0B8B8B15
	v_mul_f32_e32 v198, v21, v198                              // 000000006658: 0B8D8D15
	v_mul_f32_e32 v199, v21, v199                              // 00000000665C: 0B8F8F15
	v_cvt_f32_i32_e32 v200, v200                               // 000000006660: 7F900BC8
	v_cvt_f32_i32_e32 v201, v201                               // 000000006664: 7F920BC9
	v_cvt_f32_i32_e32 v202, v202                               // 000000006668: 7F940BCA
	v_cvt_f32_i32_e32 v203, v203                               // 00000000666C: 7F960BCB
	v_mul_f32_e32 v200, v24, v200                              // 000000006670: 0B919118
	v_mul_f32_e32 v201, v24, v201                              // 000000006674: 0B939318
	v_mul_f32_e32 v202, v24, v202                              // 000000006678: 0B959518
	v_mul_f32_e32 v203, v24, v203                              // 00000000667C: 0B979718
	v_mul_f32_dpp v200, v12, v200 row_newbcast:12 row_mask:0xf bank_mask:0xf// 000000006680: 0B9190FA FF015C0C
	v_mul_f32_dpp v201, v12, v201 row_newbcast:13 row_mask:0xf bank_mask:0xf// 000000006688: 0B9392FA FF015D0C
	v_mul_f32_dpp v202, v12, v202 row_newbcast:14 row_mask:0xf bank_mask:0xf// 000000006690: 0B9594FA FF015E0C
	v_mul_f32_dpp v203, v12, v203 row_newbcast:15 row_mask:0xf bank_mask:0xf// 000000006698: 0B9796FA FF015F0C
	v_mul_f32_e32 v200, v20, v200                              // 0000000066A0: 0B919114
	v_mul_f32_e32 v201, v20, v201                              // 0000000066A4: 0B939314
	v_mul_f32_e32 v202, v20, v202                              // 0000000066A8: 0B959514
	v_mul_f32_e32 v203, v20, v203                              // 0000000066AC: 0B979714
	v_cvt_f32_i32_e32 v204, v204                               // 0000000066B0: 7F980BCC
	v_cvt_f32_i32_e32 v205, v205                               // 0000000066B4: 7F9A0BCD
	v_cvt_f32_i32_e32 v206, v206                               // 0000000066B8: 7F9C0BCE
	v_cvt_f32_i32_e32 v207, v207                               // 0000000066BC: 7F9E0BCF
	v_mul_f32_e32 v204, v25, v204                              // 0000000066C0: 0B999919
	v_mul_f32_e32 v205, v25, v205                              // 0000000066C4: 0B9B9B19
	v_mul_f32_e32 v206, v25, v206                              // 0000000066C8: 0B9D9D19
	v_mul_f32_e32 v207, v25, v207                              // 0000000066CC: 0B9F9F19
	v_mul_f32_dpp v204, v12, v204 row_newbcast:12 row_mask:0xf bank_mask:0xf// 0000000066D0: 0B9998FA FF015C0C
	v_mul_f32_dpp v205, v12, v205 row_newbcast:13 row_mask:0xf bank_mask:0xf// 0000000066D8: 0B9B9AFA FF015D0C
	v_mul_f32_dpp v206, v12, v206 row_newbcast:14 row_mask:0xf bank_mask:0xf// 0000000066E0: 0B9D9CFA FF015E0C
	v_mul_f32_dpp v207, v12, v207 row_newbcast:15 row_mask:0xf bank_mask:0xf// 0000000066E8: 0B9F9EFA FF015F0C
	v_mul_f32_e32 v204, v21, v204                              // 0000000066F0: 0B999915
	v_mul_f32_e32 v205, v21, v205                              // 0000000066F4: 0B9B9B15
	v_mul_f32_e32 v206, v21, v206                              // 0000000066F8: 0B9D9D15
	v_mul_f32_e32 v207, v21, v207                              // 0000000066FC: 0B9F9F15
	v_cvt_pkrtz_f16_f32 v176, v176, v177                       // 000000006700: D29600B0 000363B0
	v_cvt_pkrtz_f16_f32 v177, v178, v179                       // 000000006708: D29600B1 000367B2
	v_cvt_pkrtz_f16_f32 v178, v180, v181                       // 000000006710: D29600B2 00036BB4
	v_cvt_pkrtz_f16_f32 v179, v182, v183                       // 000000006718: D29600B3 00036FB6
	v_cvt_pkrtz_f16_f32 v180, v184, v185                       // 000000006720: D29600B4 000373B8
	v_cvt_pkrtz_f16_f32 v181, v186, v187                       // 000000006728: D29600B5 000377BA
	v_cvt_pkrtz_f16_f32 v182, v188, v189                       // 000000006730: D29600B6 00037BBC
	v_cvt_pkrtz_f16_f32 v183, v190, v191                       // 000000006738: D29600B7 00037FBE
	v_cvt_pkrtz_f16_f32 v184, v192, v193                       // 000000006740: D29600B8 000383C0
	v_cvt_pkrtz_f16_f32 v185, v194, v195                       // 000000006748: D29600B9 000387C2
	v_cvt_pkrtz_f16_f32 v186, v196, v197                       // 000000006750: D29600BA 00038BC4
	v_cvt_pkrtz_f16_f32 v187, v198, v199                       // 000000006758: D29600BB 00038FC6
	v_cvt_pkrtz_f16_f32 v188, v200, v201                       // 000000006760: D29600BC 000393C8
	v_cvt_pkrtz_f16_f32 v189, v202, v203                       // 000000006768: D29600BD 000397CA
	v_cvt_pkrtz_f16_f32 v190, v204, v205                       // 000000006770: D29600BE 00039BCC
	v_cvt_pkrtz_f16_f32 v191, v206, v207                       // 000000006778: D29600BF 00039FCE
	ds_write_b64 v3, v[176:177] offset:30976                   // 000000006780: D89A7900 0000B003
	ds_write_b64 v3, v[178:179] offset:39680                   // 000000006788: D89A9B00 0000B203
	ds_write_b64 v3, v[180:181] offset:33152                   // 000000006790: D89A8180 0000B403
	ds_write_b64 v3, v[182:183] offset:41856                   // 000000006798: D89AA380 0000B603
	ds_write_b64 v3, v[184:185] offset:35328                   // 0000000067A0: D89A8A00 0000B803
	ds_write_b64 v3, v[186:187] offset:44032                   // 0000000067A8: D89AAC00 0000BA03
	ds_write_b64 v3, v[188:189] offset:37504                   // 0000000067B0: D89A9280 0000BC03
	ds_write_b64 v3, v[190:191] offset:46208                   // 0000000067B8: D89AB480 0000BE03
	s_waitcnt lgkmcnt(0)                                       // 0000000067C0: BF8CC07F
	s_barrier                                                  // 0000000067C4: BF8A0000
	ds_read_b32 v64, v4 offset:30976                           // 0000000067C8: D86C7900 40000004
	ds_read_b32 v65, v4 offset:35328                           // 0000000067D0: D86C8A00 41000004
	ds_read_b32 v66, v4 offset:31008                           // 0000000067D8: D86C7920 42000004
	ds_read_b32 v67, v4 offset:35360                           // 0000000067E0: D86C8A20 43000004
	ds_read_b32 v68, v4 offset:31040                           // 0000000067E8: D86C7940 44000004
	ds_read_b32 v69, v4 offset:35392                           // 0000000067F0: D86C8A40 45000004
	ds_read_b32 v70, v4 offset:31072                           // 0000000067F8: D86C7960 46000004
	ds_read_b32 v71, v4 offset:35424                           // 000000006800: D86C8A60 47000004
	ds_read_b32 v72, v4 offset:39680                           // 000000006808: D86C9B00 48000004
	ds_read_b32 v73, v4 offset:44032                           // 000000006810: D86CAC00 49000004
	ds_read_b32 v74, v4 offset:39712                           // 000000006818: D86C9B20 4A000004
	ds_read_b32 v75, v4 offset:44064                           // 000000006820: D86CAC20 4B000004
	ds_read_b32 v76, v4 offset:39744                           // 000000006828: D86C9B40 4C000004
	ds_read_b32 v77, v4 offset:44096                           // 000000006830: D86CAC40 4D000004
	ds_read_b32 v78, v4 offset:39776                           // 000000006838: D86C9B60 4E000004
	ds_read_b32 v79, v4 offset:44128                           // 000000006840: D86CAC60 4F000004
	s_waitcnt lgkmcnt(0)                                       // 000000006848: BF8CC07F
	s_mov_b64 exec, s[20:21]                                   // 00000000684C: BEFE0114
	global_atomic_pk_add_f16 v80, v64, s[8:9]                  // 000000006850: DD388000 00084050
	s_mov_b64 exec, s[36:37]                                   // 000000006858: BEFE0124
	s_mov_b64 exec, s[20:21]                                   // 00000000685C: BEFE0114
	global_atomic_pk_add_f16 v80, v65, s[8:9] offset:256       // 000000006860: DD388100 00084150
	s_mov_b64 exec, s[36:37]                                   // 000000006868: BEFE0124
	s_mov_b64 exec, s[22:23]                                   // 00000000686C: BEFE0116
	global_atomic_pk_add_f16 v82, v66, s[8:9]                  // 000000006870: DD388000 00084252
	s_mov_b64 exec, s[36:37]                                   // 000000006878: BEFE0124
	s_mov_b64 exec, s[22:23]                                   // 00000000687C: BEFE0116
	global_atomic_pk_add_f16 v82, v67, s[8:9] offset:256       // 000000006880: DD388100 00084352
	s_mov_b64 exec, s[36:37]                                   // 000000006888: BEFE0124
	s_mov_b64 exec, s[24:25]                                   // 00000000688C: BEFE0118
	global_atomic_pk_add_f16 v84, v68, s[8:9]                  // 000000006890: DD388000 00084454
	s_mov_b64 exec, s[36:37]                                   // 000000006898: BEFE0124
	s_mov_b64 exec, s[24:25]                                   // 00000000689C: BEFE0118
	global_atomic_pk_add_f16 v84, v69, s[8:9] offset:256       // 0000000068A0: DD388100 00084554
	s_mov_b64 exec, s[36:37]                                   // 0000000068A8: BEFE0124
	s_mov_b64 exec, s[26:27]                                   // 0000000068AC: BEFE011A
	global_atomic_pk_add_f16 v86, v70, s[8:9]                  // 0000000068B0: DD388000 00084656
	s_mov_b64 exec, s[36:37]                                   // 0000000068B8: BEFE0124
	s_mov_b64 exec, s[26:27]                                   // 0000000068BC: BEFE011A
	global_atomic_pk_add_f16 v86, v71, s[8:9] offset:256       // 0000000068C0: DD388100 00084756
	s_mov_b64 exec, s[36:37]                                   // 0000000068C8: BEFE0124
	s_mov_b64 exec, s[28:29]                                   // 0000000068CC: BEFE011C
	global_atomic_pk_add_f16 v88, v72, s[8:9]                  // 0000000068D0: DD388000 00084858
	s_mov_b64 exec, s[36:37]                                   // 0000000068D8: BEFE0124
	s_mov_b64 exec, s[28:29]                                   // 0000000068DC: BEFE011C
	global_atomic_pk_add_f16 v88, v73, s[8:9] offset:256       // 0000000068E0: DD388100 00084958
	s_mov_b64 exec, s[36:37]                                   // 0000000068E8: BEFE0124
	s_mov_b64 exec, s[30:31]                                   // 0000000068EC: BEFE011E
	global_atomic_pk_add_f16 v90, v74, s[8:9]                  // 0000000068F0: DD388000 00084A5A
	s_mov_b64 exec, s[36:37]                                   // 0000000068F8: BEFE0124
	s_mov_b64 exec, s[30:31]                                   // 0000000068FC: BEFE011E
	global_atomic_pk_add_f16 v90, v75, s[8:9] offset:256       // 000000006900: DD388100 00084B5A
	s_mov_b64 exec, s[36:37]                                   // 000000006908: BEFE0124
	s_mov_b64 exec, s[32:33]                                   // 00000000690C: BEFE0120
	global_atomic_pk_add_f16 v92, v76, s[8:9]                  // 000000006910: DD388000 00084C5C
	s_mov_b64 exec, s[36:37]                                   // 000000006918: BEFE0124
	s_mov_b64 exec, s[32:33]                                   // 00000000691C: BEFE0120
	global_atomic_pk_add_f16 v92, v77, s[8:9] offset:256       // 000000006920: DD388100 00084D5C
	s_mov_b64 exec, s[36:37]                                   // 000000006928: BEFE0124
	s_mov_b64 exec, s[34:35]                                   // 00000000692C: BEFE0122
	global_atomic_pk_add_f16 v94, v78, s[8:9]                  // 000000006930: DD388000 00084E5E
	s_mov_b64 exec, s[36:37]                                   // 000000006938: BEFE0124
	s_mov_b64 exec, s[34:35]                                   // 00000000693C: BEFE0122
	global_atomic_pk_add_f16 v94, v79, s[8:9] offset:256       // 000000006940: DD388100 00084F5E
	s_mov_b64 exec, s[36:37]                                   // 000000006948: BEFE0124
	s_add_u32 s8, s59, s8                                      // 00000000694C: 8008083B
	s_addc_u32 s9, 0, s9                                       // 000000006950: 82090980
	s_addk_i32 s80, 0x100                                      // 000000006954: B7500100
	s_cmp_lt_i32 s80, s81                                      // 000000006958: BF045150
	s_cbranch_scc0 label_111E                                  // 00000000695C: BF840246
	s_waitcnt vmcnt(37)                                        // 000000006960: BF8C8F75
	s_barrier                                                  // 000000006964: BF8A0000
	v_mfma_i32_16x16x32_i8 v[208:211], a[96:97], v[128:129], 0 // 000000006968: D3D700D0 0A030160
	v_mfma_i32_16x16x32_i8 v[208:211], a[98:99], v[130:131], v[208:211]// 000000006970: D3D700D0 0F430562
	buffer_load_dwordx4 a[0:3], v40, s[12:15], 0 offen         // 000000006978: E05C1000 80830028
	v_mfma_i32_16x16x32_i8 v[212:215], a[96:97], v[152:153], 0 // 000000006980: D3D700D4 0A033160
	v_mfma_i32_16x16x32_i8 v[212:215], a[98:99], v[154:155], v[212:215]// 000000006988: D3D700D4 0F533562
	v_mfma_i32_16x16x32_i8 v[216:219], a[100:101], v[128:129], 0// 000000006990: D3D700D8 0A030164
	v_mfma_i32_16x16x32_i8 v[216:219], a[102:103], v[130:131], v[216:219]// 000000006998: D3D700D8 0F630566
	buffer_load_dwordx4 a[4:7], v41, s[12:15], 0 offen         // 0000000069A0: E05C1000 80830429
	v_mfma_i32_16x16x32_i8 v[220:223], a[100:101], v[152:153], 0// 0000000069A8: D3D700DC 0A033164
	v_mfma_i32_16x16x32_i8 v[220:223], a[102:103], v[154:155], v[220:223]// 0000000069B0: D3D700DC 0F733566
	v_mfma_i32_16x16x32_i8 v[224:227], a[104:105], v[128:129], 0// 0000000069B8: D3D700E0 0A030168
	v_mfma_i32_16x16x32_i8 v[224:227], a[106:107], v[130:131], v[224:227]// 0000000069C0: D3D700E0 0F83056A
	buffer_load_dwordx4 a[8:11], v42, s[12:15], 0 offen        // 0000000069C8: E05C1000 8083082A
	v_mfma_i32_16x16x32_i8 v[228:231], a[104:105], v[152:153], 0// 0000000069D0: D3D700E4 0A033168
	v_mfma_i32_16x16x32_i8 v[228:231], a[106:107], v[154:155], v[228:231]// 0000000069D8: D3D700E4 0F93356A
	v_mfma_i32_16x16x32_i8 v[232:235], a[108:109], v[128:129], 0// 0000000069E0: D3D700E8 0A03016C
	v_mfma_i32_16x16x32_i8 v[232:235], a[110:111], v[130:131], v[232:235]// 0000000069E8: D3D700E8 0FA3056E
	buffer_load_dwordx4 a[12:15], v43, s[12:15], 0 offen       // 0000000069F0: E05C1000 80830C2B
	s_add_u32 s12, s78, s12                                    // 0000000069F8: 800C0C4E
	s_addc_u32 s13, 0, s13                                     // 0000000069FC: 820D0D80
	v_mfma_i32_16x16x32_i8 v[236:239], a[108:109], v[152:153], 0// 000000006A00: D3D700EC 0A03316C
	v_mfma_i32_16x16x32_i8 v[236:239], a[110:111], v[154:155], v[236:239]// 000000006A08: D3D700EC 0FB3356E
	s_waitcnt vmcnt(37)                                        // 000000006A10: BF8C8F75
	v_mfma_i32_16x16x32_i8 v[208:211], a[112:113], v[132:133], v[208:211]// 000000006A14: D3D700D0 0F430970
	v_mfma_i32_16x16x32_i8 v[208:211], a[114:115], v[134:135], v[208:211]// 000000006A1C: D3D700D0 0F430D72
	buffer_load_dwordx4 a[16:19], v40, s[12:15], 0 offen       // 000000006A24: E05C1000 80831028
	v_mfma_i32_16x16x32_i8 v[212:215], a[112:113], v[156:157], v[212:215]// 000000006A2C: D3D700D4 0F533970
	v_mfma_i32_16x16x32_i8 v[212:215], a[114:115], v[158:159], v[212:215]// 000000006A34: D3D700D4 0F533D72
	v_mfma_i32_16x16x32_i8 v[216:219], a[116:117], v[132:133], v[216:219]// 000000006A3C: D3D700D8 0F630974
	v_mfma_i32_16x16x32_i8 v[216:219], a[118:119], v[134:135], v[216:219]// 000000006A44: D3D700D8 0F630D76
	buffer_load_dwordx4 a[20:23], v41, s[12:15], 0 offen       // 000000006A4C: E05C1000 80831429
	v_mfma_i32_16x16x32_i8 v[220:223], a[116:117], v[156:157], v[220:223]// 000000006A54: D3D700DC 0F733974
	v_mfma_i32_16x16x32_i8 v[220:223], a[118:119], v[158:159], v[220:223]// 000000006A5C: D3D700DC 0F733D76
	v_mfma_i32_16x16x32_i8 v[224:227], a[120:121], v[132:133], v[224:227]// 000000006A64: D3D700E0 0F830978
	v_mfma_i32_16x16x32_i8 v[224:227], a[122:123], v[134:135], v[224:227]// 000000006A6C: D3D700E0 0F830D7A
	buffer_load_dwordx4 a[24:27], v42, s[12:15], 0 offen       // 000000006A74: E05C1000 8083182A
	v_mfma_i32_16x16x32_i8 v[228:231], a[120:121], v[156:157], v[228:231]// 000000006A7C: D3D700E4 0F933978
	v_mfma_i32_16x16x32_i8 v[228:231], a[122:123], v[158:159], v[228:231]// 000000006A84: D3D700E4 0F933D7A
	v_mfma_i32_16x16x32_i8 v[232:235], a[124:125], v[132:133], v[232:235]// 000000006A8C: D3D700E8 0FA3097C
	v_mfma_i32_16x16x32_i8 v[232:235], a[126:127], v[134:135], v[232:235]// 000000006A94: D3D700E8 0FA30D7E
	buffer_load_dwordx4 a[28:31], v43, s[12:15], 0 offen       // 000000006A9C: E05C1000 80831C2B
	s_add_u32 s12, s78, s12                                    // 000000006AA4: 800C0C4E
	s_addc_u32 s13, 0, s13                                     // 000000006AA8: 820D0D80
	v_mfma_i32_16x16x32_i8 v[236:239], a[124:125], v[156:157], v[236:239]// 000000006AAC: D3D700EC 0FB3397C
	v_mfma_i32_16x16x32_i8 v[236:239], a[126:127], v[158:159], v[236:239]// 000000006AB4: D3D700EC 0FB33D7E
	s_waitcnt vmcnt(37)                                        // 000000006ABC: BF8C8F75
	v_mfma_i32_16x16x32_i8 v[208:211], a[128:129], v[136:137], v[208:211]// 000000006AC0: D3D700D0 0F431180
	v_mfma_i32_16x16x32_i8 v[208:211], a[130:131], v[138:139], v[208:211]// 000000006AC8: D3D700D0 0F431582
	buffer_load_dwordx4 a[32:35], v40, s[12:15], 0 offen       // 000000006AD0: E05C1000 80832028
	v_mfma_i32_16x16x32_i8 v[212:215], a[128:129], v[160:161], v[212:215]// 000000006AD8: D3D700D4 0F534180
	v_mfma_i32_16x16x32_i8 v[212:215], a[130:131], v[162:163], v[212:215]// 000000006AE0: D3D700D4 0F534582
	v_mfma_i32_16x16x32_i8 v[216:219], a[132:133], v[136:137], v[216:219]// 000000006AE8: D3D700D8 0F631184
	v_mfma_i32_16x16x32_i8 v[216:219], a[134:135], v[138:139], v[216:219]// 000000006AF0: D3D700D8 0F631586
	buffer_load_dwordx4 a[36:39], v41, s[12:15], 0 offen       // 000000006AF8: E05C1000 80832429
	v_mfma_i32_16x16x32_i8 v[220:223], a[132:133], v[160:161], v[220:223]// 000000006B00: D3D700DC 0F734184
	v_mfma_i32_16x16x32_i8 v[220:223], a[134:135], v[162:163], v[220:223]// 000000006B08: D3D700DC 0F734586
	v_mfma_i32_16x16x32_i8 v[224:227], a[136:137], v[136:137], v[224:227]// 000000006B10: D3D700E0 0F831188
	v_mfma_i32_16x16x32_i8 v[224:227], a[138:139], v[138:139], v[224:227]// 000000006B18: D3D700E0 0F83158A
	buffer_load_dwordx4 a[40:43], v42, s[12:15], 0 offen       // 000000006B20: E05C1000 8083282A
	v_mfma_i32_16x16x32_i8 v[228:231], a[136:137], v[160:161], v[228:231]// 000000006B28: D3D700E4 0F934188
	v_mfma_i32_16x16x32_i8 v[228:231], a[138:139], v[162:163], v[228:231]// 000000006B30: D3D700E4 0F93458A
	v_mfma_i32_16x16x32_i8 v[232:235], a[140:141], v[136:137], v[232:235]// 000000006B38: D3D700E8 0FA3118C
	v_mfma_i32_16x16x32_i8 v[232:235], a[142:143], v[138:139], v[232:235]// 000000006B40: D3D700E8 0FA3158E
	buffer_load_dwordx4 a[44:47], v43, s[12:15], 0 offen       // 000000006B48: E05C1000 80832C2B
	s_add_u32 s12, s78, s12                                    // 000000006B50: 800C0C4E
	s_addc_u32 s13, 0, s13                                     // 000000006B54: 820D0D80
	v_mfma_i32_16x16x32_i8 v[236:239], a[140:141], v[160:161], v[236:239]// 000000006B58: D3D700EC 0FB3418C
	v_mfma_i32_16x16x32_i8 v[236:239], a[142:143], v[162:163], v[236:239]// 000000006B60: D3D700EC 0FB3458E
	s_waitcnt vmcnt(37)                                        // 000000006B68: BF8C8F75
	v_mfma_i32_16x16x32_i8 v[208:211], a[144:145], v[140:141], v[208:211]// 000000006B6C: D3D700D0 0F431990
	v_mfma_i32_16x16x32_i8 v[208:211], a[146:147], v[142:143], v[208:211]// 000000006B74: D3D700D0 0F431D92
	buffer_load_dwordx4 a[48:51], v40, s[12:15], 0 offen       // 000000006B7C: E05C1000 80833028
	v_mfma_i32_16x16x32_i8 v[212:215], a[144:145], v[164:165], v[212:215]// 000000006B84: D3D700D4 0F534990
	v_mfma_i32_16x16x32_i8 v[212:215], a[146:147], v[166:167], v[212:215]// 000000006B8C: D3D700D4 0F534D92
	v_mfma_i32_16x16x32_i8 v[216:219], a[148:149], v[140:141], v[216:219]// 000000006B94: D3D700D8 0F631994
	v_mfma_i32_16x16x32_i8 v[216:219], a[150:151], v[142:143], v[216:219]// 000000006B9C: D3D700D8 0F631D96
	buffer_load_dwordx4 a[52:55], v41, s[12:15], 0 offen       // 000000006BA4: E05C1000 80833429
	v_mfma_i32_16x16x32_i8 v[220:223], a[148:149], v[164:165], v[220:223]// 000000006BAC: D3D700DC 0F734994
	v_mfma_i32_16x16x32_i8 v[220:223], a[150:151], v[166:167], v[220:223]// 000000006BB4: D3D700DC 0F734D96
	v_mfma_i32_16x16x32_i8 v[224:227], a[152:153], v[140:141], v[224:227]// 000000006BBC: D3D700E0 0F831998
	v_mfma_i32_16x16x32_i8 v[224:227], a[154:155], v[142:143], v[224:227]// 000000006BC4: D3D700E0 0F831D9A
	buffer_load_dwordx4 a[56:59], v42, s[12:15], 0 offen       // 000000006BCC: E05C1000 8083382A
	v_mfma_i32_16x16x32_i8 v[228:231], a[152:153], v[164:165], v[228:231]// 000000006BD4: D3D700E4 0F934998
	v_mfma_i32_16x16x32_i8 v[228:231], a[154:155], v[166:167], v[228:231]// 000000006BDC: D3D700E4 0F934D9A
	v_mfma_i32_16x16x32_i8 v[232:235], a[156:157], v[140:141], v[232:235]// 000000006BE4: D3D700E8 0FA3199C
	v_mfma_i32_16x16x32_i8 v[232:235], a[158:159], v[142:143], v[232:235]// 000000006BEC: D3D700E8 0FA31D9E
	buffer_load_dwordx4 a[60:63], v43, s[12:15], 0 offen       // 000000006BF4: E05C1000 80833C2B
	s_add_u32 s12, s78, s12                                    // 000000006BFC: 800C0C4E
	s_addc_u32 s13, 0, s13                                     // 000000006C00: 820D0D80
	v_mfma_i32_16x16x32_i8 v[236:239], a[156:157], v[164:165], v[236:239]// 000000006C04: D3D700EC 0FB3499C
	v_mfma_i32_16x16x32_i8 v[236:239], a[158:159], v[166:167], v[236:239]// 000000006C0C: D3D700EC 0FB34D9E
	s_waitcnt vmcnt(37)                                        // 000000006C14: BF8C8F75
	v_mfma_i32_16x16x32_i8 v[208:211], a[160:161], v[144:145], v[208:211]// 000000006C18: D3D700D0 0F4321A0
	v_mfma_i32_16x16x32_i8 v[208:211], a[162:163], v[146:147], v[208:211]// 000000006C20: D3D700D0 0F4325A2
	buffer_load_dwordx4 a[64:67], v40, s[12:15], 0 offen       // 000000006C28: E05C1000 80834028
	v_mfma_i32_16x16x32_i8 v[212:215], a[160:161], v[168:169], v[212:215]// 000000006C30: D3D700D4 0F5351A0
	v_mfma_i32_16x16x32_i8 v[212:215], a[162:163], v[170:171], v[212:215]// 000000006C38: D3D700D4 0F5355A2
	v_mfma_i32_16x16x32_i8 v[216:219], a[164:165], v[144:145], v[216:219]// 000000006C40: D3D700D8 0F6321A4
	v_mfma_i32_16x16x32_i8 v[216:219], a[166:167], v[146:147], v[216:219]// 000000006C48: D3D700D8 0F6325A6
	buffer_load_dwordx4 a[68:71], v41, s[12:15], 0 offen       // 000000006C50: E05C1000 80834429
	v_mfma_i32_16x16x32_i8 v[220:223], a[164:165], v[168:169], v[220:223]// 000000006C58: D3D700DC 0F7351A4
	v_mfma_i32_16x16x32_i8 v[220:223], a[166:167], v[170:171], v[220:223]// 000000006C60: D3D700DC 0F7355A6
	v_mfma_i32_16x16x32_i8 v[224:227], a[168:169], v[144:145], v[224:227]// 000000006C68: D3D700E0 0F8321A8
	v_mfma_i32_16x16x32_i8 v[224:227], a[170:171], v[146:147], v[224:227]// 000000006C70: D3D700E0 0F8325AA
	buffer_load_dwordx4 a[72:75], v42, s[12:15], 0 offen       // 000000006C78: E05C1000 8083482A
	v_mfma_i32_16x16x32_i8 v[228:231], a[168:169], v[168:169], v[228:231]// 000000006C80: D3D700E4 0F9351A8
	v_mfma_i32_16x16x32_i8 v[228:231], a[170:171], v[170:171], v[228:231]// 000000006C88: D3D700E4 0F9355AA
	v_mfma_i32_16x16x32_i8 v[232:235], a[172:173], v[144:145], v[232:235]// 000000006C90: D3D700E8 0FA321AC
	v_mfma_i32_16x16x32_i8 v[232:235], a[174:175], v[146:147], v[232:235]// 000000006C98: D3D700E8 0FA325AE
	buffer_load_dwordx4 a[76:79], v43, s[12:15], 0 offen       // 000000006CA0: E05C1000 80834C2B
	s_add_u32 s12, s78, s12                                    // 000000006CA8: 800C0C4E
	s_addc_u32 s13, 0, s13                                     // 000000006CAC: 820D0D80
	v_mfma_i32_16x16x32_i8 v[236:239], a[172:173], v[168:169], v[236:239]// 000000006CB0: D3D700EC 0FB351AC
	v_mfma_i32_16x16x32_i8 v[236:239], a[174:175], v[170:171], v[236:239]// 000000006CB8: D3D700EC 0FB355AE
	s_waitcnt vmcnt(36)                                        // 000000006CC0: BF8C8F74
	v_mfma_i32_16x16x32_i8 v[208:211], a[176:177], v[148:149], v[208:211]// 000000006CC4: D3D700D0 0F4329B0
	v_mfma_i32_16x16x32_i8 v[208:211], a[178:179], v[150:151], v[208:211]// 000000006CCC: D3D700D0 0F432DB2
	buffer_load_dwordx4 a[80:83], v40, s[12:15], 0 offen       // 000000006CD4: E05C1000 80835028
	v_mfma_i32_16x16x32_i8 v[212:215], a[176:177], v[172:173], v[212:215]// 000000006CDC: D3D700D4 0F5359B0
	v_mfma_i32_16x16x32_i8 v[212:215], a[178:179], v[174:175], v[212:215]// 000000006CE4: D3D700D4 0F535DB2
	buffer_load_dword v12, v5, s[16:19], 0 offen               // 000000006CEC: E0501000 80040C05
	v_mfma_i32_16x16x32_i8 v[216:219], a[180:181], v[148:149], v[216:219]// 000000006CF4: D3D700D8 0F6329B4
	v_mfma_i32_16x16x32_i8 v[216:219], a[182:183], v[150:151], v[216:219]// 000000006CFC: D3D700D8 0F632DB6
	buffer_load_dwordx4 a[84:87], v41, s[12:15], 0 offen       // 000000006D04: E05C1000 80835429
	v_mfma_i32_16x16x32_i8 v[220:223], a[180:181], v[172:173], v[220:223]// 000000006D0C: D3D700DC 0F7359B4
	v_mfma_i32_16x16x32_i8 v[220:223], a[182:183], v[174:175], v[220:223]// 000000006D14: D3D700DC 0F735DB6
	v_mfma_i32_16x16x32_i8 v[224:227], a[184:185], v[148:149], v[224:227]// 000000006D1C: D3D700E0 0F8329B8
	v_mfma_i32_16x16x32_i8 v[224:227], a[186:187], v[150:151], v[224:227]// 000000006D24: D3D700E0 0F832DBA
	buffer_load_dwordx4 a[88:91], v42, s[12:15], 0 offen       // 000000006D2C: E05C1000 8083582A
	v_mfma_i32_16x16x32_i8 v[228:231], a[184:185], v[172:173], v[228:231]// 000000006D34: D3D700E4 0F9359B8
	v_mfma_i32_16x16x32_i8 v[228:231], a[186:187], v[174:175], v[228:231]// 000000006D3C: D3D700E4 0F935DBA
	v_mfma_i32_16x16x32_i8 v[232:235], a[188:189], v[148:149], v[232:235]// 000000006D44: D3D700E8 0FA329BC
	v_mfma_i32_16x16x32_i8 v[232:235], a[190:191], v[150:151], v[232:235]// 000000006D4C: D3D700E8 0FA32DBE
	buffer_load_dwordx4 a[92:95], v43, s[12:15], 0 offen       // 000000006D54: E05C1000 80835C2B
	v_mfma_i32_16x16x32_i8 v[236:239], a[188:189], v[172:173], v[236:239]// 000000006D5C: D3D700EC 0FB359BC
	v_mfma_i32_16x16x32_i8 v[236:239], a[190:191], v[174:175], v[236:239]// 000000006D64: D3D700EC 0FB35DBE
	s_add_u32 s60, 0x200, s80                                  // 000000006D6C: 803C50FF 00000200
	s_cmp_lt_u32 s60, s81                                      // 000000006D74: BF0A513C
	s_cselect_b32 s56, s56, 0                                  // 000000006D78: 85388038
	s_cselect_b32 s78, s78, 0                                  // 000000006D7C: 854E804E
	s_cselect_b32 s79, s79, 0                                  // 000000006D80: 854F804F
	s_add_u32 s12, s56, s12                                    // 000000006D84: 800C0C38
	s_addc_u32 s13, 0, s13                                     // 000000006D88: 820D0D80
	s_add_u32 s16, s79, s16                                    // 000000006D8C: 8010104F
	s_addc_u32 s17, 0, s17                                     // 000000006D90: 82111180
	v_cvt_f32_i32_e32 v208, v208                               // 000000006D94: 7FA00BD0
	v_cvt_f32_i32_e32 v209, v209                               // 000000006D98: 7FA20BD1
	v_cvt_f32_i32_e32 v210, v210                               // 000000006D9C: 7FA40BD2
	v_cvt_f32_i32_e32 v211, v211                               // 000000006DA0: 7FA60BD3
	v_mul_f32_e32 v208, v24, v208                              // 000000006DA4: 0BA1A118
	v_mul_f32_e32 v209, v24, v209                              // 000000006DA8: 0BA3A318
	v_mul_f32_e32 v210, v24, v210                              // 000000006DAC: 0BA5A518
	v_mul_f32_e32 v211, v24, v211                              // 000000006DB0: 0BA7A718
	v_mul_f32_dpp v208, v13, v208 row_newbcast:0 row_mask:0xf bank_mask:0xf// 000000006DB4: 0BA1A0FA FF01500D
	v_mul_f32_dpp v209, v13, v209 row_newbcast:1 row_mask:0xf bank_mask:0xf// 000000006DBC: 0BA3A2FA FF01510D
	v_mul_f32_dpp v210, v13, v210 row_newbcast:2 row_mask:0xf bank_mask:0xf// 000000006DC4: 0BA5A4FA FF01520D
	v_mul_f32_dpp v211, v13, v211 row_newbcast:3 row_mask:0xf bank_mask:0xf// 000000006DCC: 0BA7A6FA FF01530D
	v_mul_f32_e32 v208, v20, v208                              // 000000006DD4: 0BA1A114
	v_mul_f32_e32 v209, v20, v209                              // 000000006DD8: 0BA3A314
	v_mul_f32_e32 v210, v20, v210                              // 000000006DDC: 0BA5A514
	v_mul_f32_e32 v211, v20, v211                              // 000000006DE0: 0BA7A714
	v_cvt_f32_i32_e32 v212, v212                               // 000000006DE4: 7FA80BD4
	v_cvt_f32_i32_e32 v213, v213                               // 000000006DE8: 7FAA0BD5
	v_cvt_f32_i32_e32 v214, v214                               // 000000006DEC: 7FAC0BD6
	v_cvt_f32_i32_e32 v215, v215                               // 000000006DF0: 7FAE0BD7
	v_mul_f32_e32 v212, v25, v212                              // 000000006DF4: 0BA9A919
	v_mul_f32_e32 v213, v25, v213                              // 000000006DF8: 0BABAB19
	v_mul_f32_e32 v214, v25, v214                              // 000000006DFC: 0BADAD19
	v_mul_f32_e32 v215, v25, v215                              // 000000006E00: 0BAFAF19
	v_mul_f32_dpp v212, v13, v212 row_newbcast:0 row_mask:0xf bank_mask:0xf// 000000006E04: 0BA9A8FA FF01500D
	v_mul_f32_dpp v213, v13, v213 row_newbcast:1 row_mask:0xf bank_mask:0xf// 000000006E0C: 0BABAAFA FF01510D
	v_mul_f32_dpp v214, v13, v214 row_newbcast:2 row_mask:0xf bank_mask:0xf// 000000006E14: 0BADACFA FF01520D
	v_mul_f32_dpp v215, v13, v215 row_newbcast:3 row_mask:0xf bank_mask:0xf// 000000006E1C: 0BAFAEFA FF01530D
	v_mul_f32_e32 v212, v21, v212                              // 000000006E24: 0BA9A915
	v_mul_f32_e32 v213, v21, v213                              // 000000006E28: 0BABAB15
	v_mul_f32_e32 v214, v21, v214                              // 000000006E2C: 0BADAD15
	v_mul_f32_e32 v215, v21, v215                              // 000000006E30: 0BAFAF15
	v_cvt_f32_i32_e32 v216, v216                               // 000000006E34: 7FB00BD8
	v_cvt_f32_i32_e32 v217, v217                               // 000000006E38: 7FB20BD9
	v_cvt_f32_i32_e32 v218, v218                               // 000000006E3C: 7FB40BDA
	v_cvt_f32_i32_e32 v219, v219                               // 000000006E40: 7FB60BDB
	v_mul_f32_e32 v216, v24, v216                              // 000000006E44: 0BB1B118
	v_mul_f32_e32 v217, v24, v217                              // 000000006E48: 0BB3B318
	v_mul_f32_e32 v218, v24, v218                              // 000000006E4C: 0BB5B518
	v_mul_f32_e32 v219, v24, v219                              // 000000006E50: 0BB7B718
	v_mul_f32_dpp v216, v13, v216 row_newbcast:4 row_mask:0xf bank_mask:0xf// 000000006E54: 0BB1B0FA FF01540D
	v_mul_f32_dpp v217, v13, v217 row_newbcast:5 row_mask:0xf bank_mask:0xf// 000000006E5C: 0BB3B2FA FF01550D
	v_mul_f32_dpp v218, v13, v218 row_newbcast:6 row_mask:0xf bank_mask:0xf// 000000006E64: 0BB5B4FA FF01560D
	v_mul_f32_dpp v219, v13, v219 row_newbcast:7 row_mask:0xf bank_mask:0xf// 000000006E6C: 0BB7B6FA FF01570D
	v_mul_f32_e32 v216, v20, v216                              // 000000006E74: 0BB1B114
	v_mul_f32_e32 v217, v20, v217                              // 000000006E78: 0BB3B314
	v_mul_f32_e32 v218, v20, v218                              // 000000006E7C: 0BB5B514
	v_mul_f32_e32 v219, v20, v219                              // 000000006E80: 0BB7B714
	v_cvt_f32_i32_e32 v220, v220                               // 000000006E84: 7FB80BDC
	v_cvt_f32_i32_e32 v221, v221                               // 000000006E88: 7FBA0BDD
	v_cvt_f32_i32_e32 v222, v222                               // 000000006E8C: 7FBC0BDE
	v_cvt_f32_i32_e32 v223, v223                               // 000000006E90: 7FBE0BDF
	v_mul_f32_e32 v220, v25, v220                              // 000000006E94: 0BB9B919
	v_mul_f32_e32 v221, v25, v221                              // 000000006E98: 0BBBBB19
	v_mul_f32_e32 v222, v25, v222                              // 000000006E9C: 0BBDBD19
	v_mul_f32_e32 v223, v25, v223                              // 000000006EA0: 0BBFBF19
	v_mul_f32_dpp v220, v13, v220 row_newbcast:4 row_mask:0xf bank_mask:0xf// 000000006EA4: 0BB9B8FA FF01540D
	v_mul_f32_dpp v221, v13, v221 row_newbcast:5 row_mask:0xf bank_mask:0xf// 000000006EAC: 0BBBBAFA FF01550D
	v_mul_f32_dpp v222, v13, v222 row_newbcast:6 row_mask:0xf bank_mask:0xf// 000000006EB4: 0BBDBCFA FF01560D
	v_mul_f32_dpp v223, v13, v223 row_newbcast:7 row_mask:0xf bank_mask:0xf// 000000006EBC: 0BBFBEFA FF01570D
	v_mul_f32_e32 v220, v21, v220                              // 000000006EC4: 0BB9B915
	v_mul_f32_e32 v221, v21, v221                              // 000000006EC8: 0BBBBB15
	v_mul_f32_e32 v222, v21, v222                              // 000000006ECC: 0BBDBD15
	v_mul_f32_e32 v223, v21, v223                              // 000000006ED0: 0BBFBF15
	v_cvt_f32_i32_e32 v224, v224                               // 000000006ED4: 7FC00BE0
	v_cvt_f32_i32_e32 v225, v225                               // 000000006ED8: 7FC20BE1
	v_cvt_f32_i32_e32 v226, v226                               // 000000006EDC: 7FC40BE2
	v_cvt_f32_i32_e32 v227, v227                               // 000000006EE0: 7FC60BE3
	v_mul_f32_e32 v224, v24, v224                              // 000000006EE4: 0BC1C118
	v_mul_f32_e32 v225, v24, v225                              // 000000006EE8: 0BC3C318
	v_mul_f32_e32 v226, v24, v226                              // 000000006EEC: 0BC5C518
	v_mul_f32_e32 v227, v24, v227                              // 000000006EF0: 0BC7C718
	v_mul_f32_dpp v224, v13, v224 row_newbcast:8 row_mask:0xf bank_mask:0xf// 000000006EF4: 0BC1C0FA FF01580D
	v_mul_f32_dpp v225, v13, v225 row_newbcast:9 row_mask:0xf bank_mask:0xf// 000000006EFC: 0BC3C2FA FF01590D
	v_mul_f32_dpp v226, v13, v226 row_newbcast:10 row_mask:0xf bank_mask:0xf// 000000006F04: 0BC5C4FA FF015A0D
	v_mul_f32_dpp v227, v13, v227 row_newbcast:11 row_mask:0xf bank_mask:0xf// 000000006F0C: 0BC7C6FA FF015B0D
	v_mul_f32_e32 v224, v20, v224                              // 000000006F14: 0BC1C114
	v_mul_f32_e32 v225, v20, v225                              // 000000006F18: 0BC3C314
	v_mul_f32_e32 v226, v20, v226                              // 000000006F1C: 0BC5C514
	v_mul_f32_e32 v227, v20, v227                              // 000000006F20: 0BC7C714
	v_cvt_f32_i32_e32 v228, v228                               // 000000006F24: 7FC80BE4
	v_cvt_f32_i32_e32 v229, v229                               // 000000006F28: 7FCA0BE5
	v_cvt_f32_i32_e32 v230, v230                               // 000000006F2C: 7FCC0BE6
	v_cvt_f32_i32_e32 v231, v231                               // 000000006F30: 7FCE0BE7
	v_mul_f32_e32 v228, v25, v228                              // 000000006F34: 0BC9C919
	v_mul_f32_e32 v229, v25, v229                              // 000000006F38: 0BCBCB19
	v_mul_f32_e32 v230, v25, v230                              // 000000006F3C: 0BCDCD19
	v_mul_f32_e32 v231, v25, v231                              // 000000006F40: 0BCFCF19
	v_mul_f32_dpp v228, v13, v228 row_newbcast:8 row_mask:0xf bank_mask:0xf// 000000006F44: 0BC9C8FA FF01580D
	v_mul_f32_dpp v229, v13, v229 row_newbcast:9 row_mask:0xf bank_mask:0xf// 000000006F4C: 0BCBCAFA FF01590D
	v_mul_f32_dpp v230, v13, v230 row_newbcast:10 row_mask:0xf bank_mask:0xf// 000000006F54: 0BCDCCFA FF015A0D
	v_mul_f32_dpp v231, v13, v231 row_newbcast:11 row_mask:0xf bank_mask:0xf// 000000006F5C: 0BCFCEFA FF015B0D
	v_mul_f32_e32 v228, v21, v228                              // 000000006F64: 0BC9C915
	v_mul_f32_e32 v229, v21, v229                              // 000000006F68: 0BCBCB15
	v_mul_f32_e32 v230, v21, v230                              // 000000006F6C: 0BCDCD15
	v_mul_f32_e32 v231, v21, v231                              // 000000006F70: 0BCFCF15
	v_cvt_f32_i32_e32 v232, v232                               // 000000006F74: 7FD00BE8
	v_cvt_f32_i32_e32 v233, v233                               // 000000006F78: 7FD20BE9
	v_cvt_f32_i32_e32 v234, v234                               // 000000006F7C: 7FD40BEA
	v_cvt_f32_i32_e32 v235, v235                               // 000000006F80: 7FD60BEB
	v_mul_f32_e32 v232, v24, v232                              // 000000006F84: 0BD1D118
	v_mul_f32_e32 v233, v24, v233                              // 000000006F88: 0BD3D318
	v_mul_f32_e32 v234, v24, v234                              // 000000006F8C: 0BD5D518
	v_mul_f32_e32 v235, v24, v235                              // 000000006F90: 0BD7D718
	v_mul_f32_dpp v232, v13, v232 row_newbcast:12 row_mask:0xf bank_mask:0xf// 000000006F94: 0BD1D0FA FF015C0D
	v_mul_f32_dpp v233, v13, v233 row_newbcast:13 row_mask:0xf bank_mask:0xf// 000000006F9C: 0BD3D2FA FF015D0D
	v_mul_f32_dpp v234, v13, v234 row_newbcast:14 row_mask:0xf bank_mask:0xf// 000000006FA4: 0BD5D4FA FF015E0D
	v_mul_f32_dpp v235, v13, v235 row_newbcast:15 row_mask:0xf bank_mask:0xf// 000000006FAC: 0BD7D6FA FF015F0D
	v_mul_f32_e32 v232, v20, v232                              // 000000006FB4: 0BD1D114
	v_mul_f32_e32 v233, v20, v233                              // 000000006FB8: 0BD3D314
	v_mul_f32_e32 v234, v20, v234                              // 000000006FBC: 0BD5D514
	v_mul_f32_e32 v235, v20, v235                              // 000000006FC0: 0BD7D714
	v_cvt_f32_i32_e32 v236, v236                               // 000000006FC4: 7FD80BEC
	v_cvt_f32_i32_e32 v237, v237                               // 000000006FC8: 7FDA0BED
	v_cvt_f32_i32_e32 v238, v238                               // 000000006FCC: 7FDC0BEE
	v_cvt_f32_i32_e32 v239, v239                               // 000000006FD0: 7FDE0BEF
	v_mul_f32_e32 v236, v25, v236                              // 000000006FD4: 0BD9D919
	v_mul_f32_e32 v237, v25, v237                              // 000000006FD8: 0BDBDB19
	v_mul_f32_e32 v238, v25, v238                              // 000000006FDC: 0BDDDD19
	v_mul_f32_e32 v239, v25, v239                              // 000000006FE0: 0BDFDF19
	v_mul_f32_dpp v236, v13, v236 row_newbcast:12 row_mask:0xf bank_mask:0xf// 000000006FE4: 0BD9D8FA FF015C0D
	v_mul_f32_dpp v237, v13, v237 row_newbcast:13 row_mask:0xf bank_mask:0xf// 000000006FEC: 0BDBDAFA FF015D0D
	v_mul_f32_dpp v238, v13, v238 row_newbcast:14 row_mask:0xf bank_mask:0xf// 000000006FF4: 0BDDDCFA FF015E0D
	v_mul_f32_dpp v239, v13, v239 row_newbcast:15 row_mask:0xf bank_mask:0xf// 000000006FFC: 0BDFDEFA FF015F0D
	v_mul_f32_e32 v236, v21, v236                              // 000000007004: 0BD9D915
	v_mul_f32_e32 v237, v21, v237                              // 000000007008: 0BDBDB15
	v_mul_f32_e32 v238, v21, v238                              // 00000000700C: 0BDDDD15
	v_mul_f32_e32 v239, v21, v239                              // 000000007010: 0BDFDF15
	v_cvt_pkrtz_f16_f32 v208, v208, v209                       // 000000007014: D29600D0 0003A3D0
	v_cvt_pkrtz_f16_f32 v209, v210, v211                       // 00000000701C: D29600D1 0003A7D2
	v_cvt_pkrtz_f16_f32 v210, v212, v213                       // 000000007024: D29600D2 0003ABD4
	v_cvt_pkrtz_f16_f32 v211, v214, v215                       // 00000000702C: D29600D3 0003AFD6
	v_cvt_pkrtz_f16_f32 v212, v216, v217                       // 000000007034: D29600D4 0003B3D8
	v_cvt_pkrtz_f16_f32 v213, v218, v219                       // 00000000703C: D29600D5 0003B7DA
	v_cvt_pkrtz_f16_f32 v214, v220, v221                       // 000000007044: D29600D6 0003BBDC
	v_cvt_pkrtz_f16_f32 v215, v222, v223                       // 00000000704C: D29600D7 0003BFDE
	v_cvt_pkrtz_f16_f32 v216, v224, v225                       // 000000007054: D29600D8 0003C3E0
	v_cvt_pkrtz_f16_f32 v217, v226, v227                       // 00000000705C: D29600D9 0003C7E2
	v_cvt_pkrtz_f16_f32 v218, v228, v229                       // 000000007064: D29600DA 0003CBE4
	v_cvt_pkrtz_f16_f32 v219, v230, v231                       // 00000000706C: D29600DB 0003CFE6
	v_cvt_pkrtz_f16_f32 v220, v232, v233                       // 000000007074: D29600DC 0003D3E8
	v_cvt_pkrtz_f16_f32 v221, v234, v235                       // 00000000707C: D29600DD 0003D7EA
	v_cvt_pkrtz_f16_f32 v222, v236, v237                       // 000000007084: D29600DE 0003DBEC
	v_cvt_pkrtz_f16_f32 v223, v238, v239                       // 00000000708C: D29600DF 0003DFEE
	ds_write_b64 v3, v[208:209] offset:30976                   // 000000007094: D89A7900 0000D003
	ds_write_b64 v3, v[210:211] offset:39680                   // 00000000709C: D89A9B00 0000D203
	ds_write_b64 v3, v[212:213] offset:33152                   // 0000000070A4: D89A8180 0000D403
	ds_write_b64 v3, v[214:215] offset:41856                   // 0000000070AC: D89AA380 0000D603
	ds_write_b64 v3, v[216:217] offset:35328                   // 0000000070B4: D89A8A00 0000D803
	ds_write_b64 v3, v[218:219] offset:44032                   // 0000000070BC: D89AAC00 0000DA03
	ds_write_b64 v3, v[220:221] offset:37504                   // 0000000070C4: D89A9280 0000DC03
	ds_write_b64 v3, v[222:223] offset:46208                   // 0000000070CC: D89AB480 0000DE03
	s_waitcnt lgkmcnt(0)                                       // 0000000070D4: BF8CC07F
	s_barrier                                                  // 0000000070D8: BF8A0000
	ds_read_b32 v64, v4 offset:30976                           // 0000000070DC: D86C7900 40000004
	ds_read_b32 v65, v4 offset:35328                           // 0000000070E4: D86C8A00 41000004
	ds_read_b32 v66, v4 offset:31008                           // 0000000070EC: D86C7920 42000004
	ds_read_b32 v67, v4 offset:35360                           // 0000000070F4: D86C8A20 43000004
	ds_read_b32 v68, v4 offset:31040                           // 0000000070FC: D86C7940 44000004
	ds_read_b32 v69, v4 offset:35392                           // 000000007104: D86C8A40 45000004
	ds_read_b32 v70, v4 offset:31072                           // 00000000710C: D86C7960 46000004
	ds_read_b32 v71, v4 offset:35424                           // 000000007114: D86C8A60 47000004
	ds_read_b32 v72, v4 offset:39680                           // 00000000711C: D86C9B00 48000004
	ds_read_b32 v73, v4 offset:44032                           // 000000007124: D86CAC00 49000004
	ds_read_b32 v74, v4 offset:39712                           // 00000000712C: D86C9B20 4A000004
	ds_read_b32 v75, v4 offset:44064                           // 000000007134: D86CAC20 4B000004
	ds_read_b32 v76, v4 offset:39744                           // 00000000713C: D86C9B40 4C000004
	ds_read_b32 v77, v4 offset:44096                           // 000000007144: D86CAC40 4D000004
	ds_read_b32 v78, v4 offset:39776                           // 00000000714C: D86C9B60 4E000004
	ds_read_b32 v79, v4 offset:44128                           // 000000007154: D86CAC60 4F000004
	s_waitcnt lgkmcnt(0)                                       // 00000000715C: BF8CC07F
	s_mov_b64 exec, s[20:21]                                   // 000000007160: BEFE0114
	global_atomic_pk_add_f16 v80, v64, s[8:9]                  // 000000007164: DD388000 00084050
	s_mov_b64 exec, s[36:37]                                   // 00000000716C: BEFE0124
	s_mov_b64 exec, s[20:21]                                   // 000000007170: BEFE0114
	global_atomic_pk_add_f16 v80, v65, s[8:9] offset:256       // 000000007174: DD388100 00084150
	s_mov_b64 exec, s[36:37]                                   // 00000000717C: BEFE0124
	s_mov_b64 exec, s[22:23]                                   // 000000007180: BEFE0116
	global_atomic_pk_add_f16 v82, v66, s[8:9]                  // 000000007184: DD388000 00084252
	s_mov_b64 exec, s[36:37]                                   // 00000000718C: BEFE0124
	s_mov_b64 exec, s[22:23]                                   // 000000007190: BEFE0116
	global_atomic_pk_add_f16 v82, v67, s[8:9] offset:256       // 000000007194: DD388100 00084352
	s_mov_b64 exec, s[36:37]                                   // 00000000719C: BEFE0124
	s_mov_b64 exec, s[24:25]                                   // 0000000071A0: BEFE0118
	global_atomic_pk_add_f16 v84, v68, s[8:9]                  // 0000000071A4: DD388000 00084454
	s_mov_b64 exec, s[36:37]                                   // 0000000071AC: BEFE0124
	s_mov_b64 exec, s[24:25]                                   // 0000000071B0: BEFE0118
	global_atomic_pk_add_f16 v84, v69, s[8:9] offset:256       // 0000000071B4: DD388100 00084554
	s_mov_b64 exec, s[36:37]                                   // 0000000071BC: BEFE0124
	s_mov_b64 exec, s[26:27]                                   // 0000000071C0: BEFE011A
	global_atomic_pk_add_f16 v86, v70, s[8:9]                  // 0000000071C4: DD388000 00084656
	s_mov_b64 exec, s[36:37]                                   // 0000000071CC: BEFE0124
	s_mov_b64 exec, s[26:27]                                   // 0000000071D0: BEFE011A
	global_atomic_pk_add_f16 v86, v71, s[8:9] offset:256       // 0000000071D4: DD388100 00084756
	s_mov_b64 exec, s[36:37]                                   // 0000000071DC: BEFE0124
	s_mov_b64 exec, s[28:29]                                   // 0000000071E0: BEFE011C
	global_atomic_pk_add_f16 v88, v72, s[8:9]                  // 0000000071E4: DD388000 00084858
	s_mov_b64 exec, s[36:37]                                   // 0000000071EC: BEFE0124
	s_mov_b64 exec, s[28:29]                                   // 0000000071F0: BEFE011C
	global_atomic_pk_add_f16 v88, v73, s[8:9] offset:256       // 0000000071F4: DD388100 00084958
	s_mov_b64 exec, s[36:37]                                   // 0000000071FC: BEFE0124
	s_mov_b64 exec, s[30:31]                                   // 000000007200: BEFE011E
	global_atomic_pk_add_f16 v90, v74, s[8:9]                  // 000000007204: DD388000 00084A5A
	s_mov_b64 exec, s[36:37]                                   // 00000000720C: BEFE0124
	s_mov_b64 exec, s[30:31]                                   // 000000007210: BEFE011E
	global_atomic_pk_add_f16 v90, v75, s[8:9] offset:256       // 000000007214: DD388100 00084B5A
	s_mov_b64 exec, s[36:37]                                   // 00000000721C: BEFE0124
	s_mov_b64 exec, s[32:33]                                   // 000000007220: BEFE0120
	global_atomic_pk_add_f16 v92, v76, s[8:9]                  // 000000007224: DD388000 00084C5C
	s_mov_b64 exec, s[36:37]                                   // 00000000722C: BEFE0124
	s_mov_b64 exec, s[32:33]                                   // 000000007230: BEFE0120
	global_atomic_pk_add_f16 v92, v77, s[8:9] offset:256       // 000000007234: DD388100 00084D5C
	s_mov_b64 exec, s[36:37]                                   // 00000000723C: BEFE0124
	s_mov_b64 exec, s[34:35]                                   // 000000007240: BEFE0122
	global_atomic_pk_add_f16 v94, v78, s[8:9]                  // 000000007244: DD388000 00084E5E
	s_mov_b64 exec, s[36:37]                                   // 00000000724C: BEFE0124
	s_mov_b64 exec, s[34:35]                                   // 000000007250: BEFE0122
	global_atomic_pk_add_f16 v94, v79, s[8:9] offset:256       // 000000007254: DD388100 00084F5E
	s_mov_b64 exec, s[36:37]                                   // 00000000725C: BEFE0124
	s_add_u32 s8, s59, s8                                      // 000000007260: 8008083B
	s_addc_u32 s9, 0, s9                                       // 000000007264: 82090980
	s_addk_i32 s80, 0x100                                      // 000000007268: B7500100
	s_cmp_lt_i32 s80, s81                                      // 00000000726C: BF045150
	s_cbranch_scc0 label_111E                                  // 000000007270: BF840001
	s_branch label_0C93                                        // 000000007274: BF82FB75

0000000000007278 <label_111E>:
	s_nop 0                                                    // 000000007278: BF800000
	s_nop 0                                                    // 00000000727C: BF800000
	s_branch label_1FCD                                        // 000000007280: BF820EAC

0000000000007284 <label_1121>:
	s_waitcnt vmcnt(16) lgkmcnt(0)                             // 000000007284: BF8C4070
	s_barrier                                                  // 000000007288: BF8A0000
	v_mfma_i32_16x16x32_i8 v[128:131], a[0:1], v[176:177], v[128:131]// 00000000728C: D3D70080 0E036100
	buffer_load_dwordx4 a[96:99], v34, s[92:95], 0 offen       // 000000007294: E05C1000 80976022
	v_mfma_i32_16x16x32_i8 v[128:131], a[2:3], v[178:179], v[128:131]// 00000000729C: D3D70080 0E036502
	v_mfma_i32_16x16x32_i8 v[128:131], a[4:5], v[180:181], v[128:131]// 0000000072A4: D3D70080 0E036904
	buffer_load_dword v26, s[20:23], 0 offen lds               // 0000000072AC: E0511000 8005001A
	s_add_u32 m0, 0x100, s51                                   // 0000000072B4: 807C33FF 00000100
	v_mfma_i32_16x16x32_i8 v[128:131], a[6:7], v[182:183], v[128:131]// 0000000072BC: D3D70080 0E036D06
	v_mfma_i32_16x16x32_i8 v[128:131], a[8:9], v[184:185], v[128:131]// 0000000072C4: D3D70080 0E037108
	buffer_load_dwordx4 a[100:103], v34, s[92:95], 0 offen offset:1024// 0000000072CC: E05C1400 80976422
	v_mfma_i32_16x16x32_i8 v[128:131], a[10:11], v[186:187], v[128:131]// 0000000072D4: D3D70080 0E03750A
	v_mfma_i32_16x16x32_i8 v[128:131], a[12:13], v[188:189], v[128:131]// 0000000072DC: D3D70080 0E03790C
	buffer_load_dword v27, s[20:23], 0 offen lds               // 0000000072E4: E0511000 8005001B
	s_add_u32 m0, 0x200, s51                                   // 0000000072EC: 807C33FF 00000200
	v_mfma_i32_16x16x32_i8 v[128:131], a[14:15], v[190:191], v[128:131]// 0000000072F4: D3D70080 0E037D0E
	v_mfma_i32_16x16x32_i8 v[132:135], a[0:1], v[192:193], v[132:135]// 0000000072FC: D3D70084 0E138100
	buffer_load_dwordx4 a[104:107], v34, s[92:95], 0 offen offset:2048// 000000007304: E05C1800 80976822
	v_mfma_i32_16x16x32_i8 v[132:135], a[2:3], v[194:195], v[132:135]// 00000000730C: D3D70084 0E138502
	v_mfma_i32_16x16x32_i8 v[132:135], a[4:5], v[196:197], v[132:135]// 000000007314: D3D70084 0E138904
	buffer_load_dword v28, s[20:23], 0 offen lds               // 00000000731C: E0511000 8005001C
	s_add_u32 m0, 0x300, s51                                   // 000000007324: 807C33FF 00000300
	v_mfma_i32_16x16x32_i8 v[132:135], a[6:7], v[198:199], v[132:135]// 00000000732C: D3D70084 0E138D06
	v_mfma_i32_16x16x32_i8 v[132:135], a[8:9], v[200:201], v[132:135]// 000000007334: D3D70084 0E139108
	buffer_load_dwordx4 a[108:111], v34, s[92:95], 0 offen offset:3072// 00000000733C: E05C1C00 80976C22
	v_mfma_i32_16x16x32_i8 v[132:135], a[10:11], v[202:203], v[132:135]// 000000007344: D3D70084 0E13950A
	v_mfma_i32_16x16x32_i8 v[132:135], a[12:13], v[204:205], v[132:135]// 00000000734C: D3D70084 0E13990C
	buffer_load_dword v29, s[20:23], 0 offen lds               // 000000007354: E0511000 8005001D
	s_add_u32 m0, 0x400, s51                                   // 00000000735C: 807C33FF 00000400
	v_mfma_i32_16x16x32_i8 v[132:135], a[14:15], v[206:207], v[132:135]// 000000007364: D3D70084 0E139D0E
	v_mfma_i32_16x16x32_i8 v[136:139], a[16:17], v[176:177], v[136:139]// 00000000736C: D3D70088 0E236110
	buffer_load_dwordx4 a[112:115], v35, s[92:95], 0 offen     // 000000007374: E05C1000 80977023
	v_mfma_i32_16x16x32_i8 v[136:139], a[18:19], v[178:179], v[136:139]// 00000000737C: D3D70088 0E236512
	v_mfma_i32_16x16x32_i8 v[136:139], a[20:21], v[180:181], v[136:139]// 000000007384: D3D70088 0E236914
	buffer_load_dword v30, s[20:23], 0 offen lds               // 00000000738C: E0511000 8005001E
	s_add_u32 m0, 0x500, s51                                   // 000000007394: 807C33FF 00000500
	v_mfma_i32_16x16x32_i8 v[136:139], a[22:23], v[182:183], v[136:139]// 00000000739C: D3D70088 0E236D16
	v_mfma_i32_16x16x32_i8 v[136:139], a[24:25], v[184:185], v[136:139]// 0000000073A4: D3D70088 0E237118
	buffer_load_dwordx4 a[116:119], v35, s[92:95], 0 offen offset:1024// 0000000073AC: E05C1400 80977423
	v_mfma_i32_16x16x32_i8 v[136:139], a[26:27], v[186:187], v[136:139]// 0000000073B4: D3D70088 0E23751A
	v_mfma_i32_16x16x32_i8 v[136:139], a[28:29], v[188:189], v[136:139]// 0000000073BC: D3D70088 0E23791C
	buffer_load_dword v31, s[20:23], 0 offen lds               // 0000000073C4: E0511000 8005001F
	s_add_u32 m0, 0x600, s51                                   // 0000000073CC: 807C33FF 00000600
	v_mfma_i32_16x16x32_i8 v[136:139], a[30:31], v[190:191], v[136:139]// 0000000073D4: D3D70088 0E237D1E
	v_mfma_i32_16x16x32_i8 v[140:143], a[16:17], v[192:193], v[140:143]// 0000000073DC: D3D7008C 0E338110
	buffer_load_dwordx4 a[120:123], v35, s[92:95], 0 offen offset:2048// 0000000073E4: E05C1800 80977823
	v_mfma_i32_16x16x32_i8 v[140:143], a[18:19], v[194:195], v[140:143]// 0000000073EC: D3D7008C 0E338512
	v_mfma_i32_16x16x32_i8 v[140:143], a[20:21], v[196:197], v[140:143]// 0000000073F4: D3D7008C 0E338914
	buffer_load_dword v32, s[20:23], 0 offen lds               // 0000000073FC: E0511000 80050020
	s_add_u32 m0, 0x700, s51                                   // 000000007404: 807C33FF 00000700
	v_mfma_i32_16x16x32_i8 v[140:143], a[22:23], v[198:199], v[140:143]// 00000000740C: D3D7008C 0E338D16
	v_mfma_i32_16x16x32_i8 v[140:143], a[24:25], v[200:201], v[140:143]// 000000007414: D3D7008C 0E339118
	buffer_load_dwordx4 a[124:127], v35, s[92:95], 0 offen offset:3072// 00000000741C: E05C1C00 80977C23
	v_mfma_i32_16x16x32_i8 v[140:143], a[26:27], v[202:203], v[140:143]// 000000007424: D3D7008C 0E33951A
	v_mfma_i32_16x16x32_i8 v[140:143], a[28:29], v[204:205], v[140:143]// 00000000742C: D3D7008C 0E33991C
	buffer_load_dword v33, s[20:23], 0 offen lds               // 000000007434: E0511000 80050021
	s_add_u32 m0, 0, s50                                       // 00000000743C: 807C3280
	v_mfma_i32_16x16x32_i8 v[140:143], a[30:31], v[206:207], v[140:143]// 000000007440: D3D7008C 0E339D1E
	s_waitcnt vmcnt(28)                                        // 000000007448: BF8C4F7C
	v_mfma_i32_16x16x32_i8 v[144:147], a[32:33], v[176:177], v[144:147]// 00000000744C: D3D70090 0E436120
	buffer_load_dwordx4 a[128:131], v36, s[92:95], 0 offen     // 000000007454: E05C1000 80978024
	v_mfma_i32_16x16x32_i8 v[144:147], a[34:35], v[178:179], v[144:147]// 00000000745C: D3D70090 0E436522
	v_mfma_i32_16x16x32_i8 v[144:147], a[36:37], v[180:181], v[144:147]// 000000007464: D3D70090 0E436924
	v_mfma_i32_16x16x32_i8 v[144:147], a[38:39], v[182:183], v[144:147]// 00000000746C: D3D70090 0E436D26
	v_mfma_i32_16x16x32_i8 v[144:147], a[40:41], v[184:185], v[144:147]// 000000007474: D3D70090 0E437128
	buffer_load_dwordx4 a[132:135], v36, s[92:95], 0 offen offset:1024// 00000000747C: E05C1400 80978424
	v_mfma_i32_16x16x32_i8 v[144:147], a[42:43], v[186:187], v[144:147]// 000000007484: D3D70090 0E43752A
	v_mfma_i32_16x16x32_i8 v[144:147], a[44:45], v[188:189], v[144:147]// 00000000748C: D3D70090 0E43792C
	v_mfma_i32_16x16x32_i8 v[144:147], a[46:47], v[190:191], v[144:147]// 000000007494: D3D70090 0E437D2E
	v_mfma_i32_16x16x32_i8 v[148:151], a[32:33], v[192:193], v[148:151]// 00000000749C: D3D70094 0E538120
	buffer_load_dwordx4 a[136:139], v36, s[92:95], 0 offen offset:2048// 0000000074A4: E05C1800 80978824
	v_mfma_i32_16x16x32_i8 v[148:151], a[34:35], v[194:195], v[148:151]// 0000000074AC: D3D70094 0E538522
	v_mfma_i32_16x16x32_i8 v[148:151], a[36:37], v[196:197], v[148:151]// 0000000074B4: D3D70094 0E538924
	v_mfma_i32_16x16x32_i8 v[148:151], a[38:39], v[198:199], v[148:151]// 0000000074BC: D3D70094 0E538D26
	v_mfma_i32_16x16x32_i8 v[148:151], a[40:41], v[200:201], v[148:151]// 0000000074C4: D3D70094 0E539128
	buffer_load_dwordx4 a[140:143], v36, s[92:95], 0 offen offset:3072// 0000000074CC: E05C1C00 80978C24
	v_mfma_i32_16x16x32_i8 v[148:151], a[42:43], v[202:203], v[148:151]// 0000000074D4: D3D70094 0E53952A
	v_mfma_i32_16x16x32_i8 v[148:151], a[44:45], v[204:205], v[148:151]// 0000000074DC: D3D70094 0E53992C
	v_mfma_i32_16x16x32_i8 v[148:151], a[46:47], v[206:207], v[148:151]// 0000000074E4: D3D70094 0E539D2E
	s_waitcnt vmcnt(28)                                        // 0000000074EC: BF8C4F7C
	v_mfma_i32_16x16x32_i8 v[152:155], a[48:49], v[176:177], v[152:155]// 0000000074F0: D3D70098 0E636130
	buffer_load_dwordx4 a[144:147], v37, s[92:95], 0 offen     // 0000000074F8: E05C1000 80979025
	v_mfma_i32_16x16x32_i8 v[152:155], a[50:51], v[178:179], v[152:155]// 000000007500: D3D70098 0E636532
	v_mfma_i32_16x16x32_i8 v[152:155], a[52:53], v[180:181], v[152:155]// 000000007508: D3D70098 0E636934
	v_mfma_i32_16x16x32_i8 v[152:155], a[54:55], v[182:183], v[152:155]// 000000007510: D3D70098 0E636D36
	v_mfma_i32_16x16x32_i8 v[152:155], a[56:57], v[184:185], v[152:155]// 000000007518: D3D70098 0E637138
	buffer_load_dwordx4 a[148:151], v37, s[92:95], 0 offen offset:1024// 000000007520: E05C1400 80979425
	v_mfma_i32_16x16x32_i8 v[152:155], a[58:59], v[186:187], v[152:155]// 000000007528: D3D70098 0E63753A
	v_mfma_i32_16x16x32_i8 v[152:155], a[60:61], v[188:189], v[152:155]// 000000007530: D3D70098 0E63793C
	v_mfma_i32_16x16x32_i8 v[152:155], a[62:63], v[190:191], v[152:155]// 000000007538: D3D70098 0E637D3E
	v_mfma_i32_16x16x32_i8 v[156:159], a[48:49], v[192:193], v[156:159]// 000000007540: D3D7009C 0E738130
	buffer_load_dwordx4 a[152:155], v37, s[92:95], 0 offen offset:2048// 000000007548: E05C1800 80979825
	v_mfma_i32_16x16x32_i8 v[156:159], a[50:51], v[194:195], v[156:159]// 000000007550: D3D7009C 0E738532
	v_mfma_i32_16x16x32_i8 v[156:159], a[52:53], v[196:197], v[156:159]// 000000007558: D3D7009C 0E738934
	v_mfma_i32_16x16x32_i8 v[156:159], a[54:55], v[198:199], v[156:159]// 000000007560: D3D7009C 0E738D36
	v_mfma_i32_16x16x32_i8 v[156:159], a[56:57], v[200:201], v[156:159]// 000000007568: D3D7009C 0E739138
	buffer_load_dwordx4 a[156:159], v37, s[92:95], 0 offen offset:3072// 000000007570: E05C1C00 80979C25
	v_mfma_i32_16x16x32_i8 v[156:159], a[58:59], v[202:203], v[156:159]// 000000007578: D3D7009C 0E73953A
	v_mfma_i32_16x16x32_i8 v[156:159], a[60:61], v[204:205], v[156:159]// 000000007580: D3D7009C 0E73993C
	v_mfma_i32_16x16x32_i8 v[156:159], a[62:63], v[206:207], v[156:159]// 000000007588: D3D7009C 0E739D3E
	s_waitcnt vmcnt(28)                                        // 000000007590: BF8C4F7C
	v_mfma_i32_16x16x32_i8 v[160:163], a[64:65], v[176:177], v[160:163]// 000000007594: D3D700A0 0E836140
	buffer_load_dwordx4 a[160:163], v38, s[92:95], 0 offen     // 00000000759C: E05C1000 8097A026
	v_mfma_i32_16x16x32_i8 v[160:163], a[66:67], v[178:179], v[160:163]// 0000000075A4: D3D700A0 0E836542
	v_mfma_i32_16x16x32_i8 v[160:163], a[68:69], v[180:181], v[160:163]// 0000000075AC: D3D700A0 0E836944
	v_mfma_i32_16x16x32_i8 v[160:163], a[70:71], v[182:183], v[160:163]// 0000000075B4: D3D700A0 0E836D46
	v_mfma_i32_16x16x32_i8 v[160:163], a[72:73], v[184:185], v[160:163]// 0000000075BC: D3D700A0 0E837148
	buffer_load_dwordx4 a[164:167], v38, s[92:95], 0 offen offset:1024// 0000000075C4: E05C1400 8097A426
	v_mfma_i32_16x16x32_i8 v[160:163], a[74:75], v[186:187], v[160:163]// 0000000075CC: D3D700A0 0E83754A
	v_mfma_i32_16x16x32_i8 v[160:163], a[76:77], v[188:189], v[160:163]// 0000000075D4: D3D700A0 0E83794C
	v_mfma_i32_16x16x32_i8 v[160:163], a[78:79], v[190:191], v[160:163]// 0000000075DC: D3D700A0 0E837D4E
	v_mfma_i32_16x16x32_i8 v[164:167], a[64:65], v[192:193], v[164:167]// 0000000075E4: D3D700A4 0E938140
	buffer_load_dwordx4 a[168:171], v38, s[92:95], 0 offen offset:2048// 0000000075EC: E05C1800 8097A826
	v_mfma_i32_16x16x32_i8 v[164:167], a[66:67], v[194:195], v[164:167]// 0000000075F4: D3D700A4 0E938542
	v_mfma_i32_16x16x32_i8 v[164:167], a[68:69], v[196:197], v[164:167]// 0000000075FC: D3D700A4 0E938944
	v_mfma_i32_16x16x32_i8 v[164:167], a[70:71], v[198:199], v[164:167]// 000000007604: D3D700A4 0E938D46
	v_mfma_i32_16x16x32_i8 v[164:167], a[72:73], v[200:201], v[164:167]// 00000000760C: D3D700A4 0E939148
	buffer_load_dwordx4 a[172:175], v38, s[92:95], 0 offen offset:3072// 000000007614: E05C1C00 8097AC26
	v_mfma_i32_16x16x32_i8 v[164:167], a[74:75], v[202:203], v[164:167]// 00000000761C: D3D700A4 0E93954A
	v_mfma_i32_16x16x32_i8 v[164:167], a[76:77], v[204:205], v[164:167]// 000000007624: D3D700A4 0E93994C
	v_mfma_i32_16x16x32_i8 v[164:167], a[78:79], v[206:207], v[164:167]// 00000000762C: D3D700A4 0E939D4E
	s_waitcnt vmcnt(28)                                        // 000000007634: BF8C4F7C
	v_mfma_i32_16x16x32_i8 v[168:171], a[80:81], v[176:177], v[168:171]// 000000007638: D3D700A8 0EA36150
	buffer_load_dwordx4 a[176:179], v39, s[92:95], 0 offen     // 000000007640: E05C1000 8097B027
	v_mfma_i32_16x16x32_i8 v[168:171], a[82:83], v[178:179], v[168:171]// 000000007648: D3D700A8 0EA36552
	v_mfma_i32_16x16x32_i8 v[168:171], a[84:85], v[180:181], v[168:171]// 000000007650: D3D700A8 0EA36954
	v_mfma_i32_16x16x32_i8 v[168:171], a[86:87], v[182:183], v[168:171]// 000000007658: D3D700A8 0EA36D56
	v_mfma_i32_16x16x32_i8 v[168:171], a[88:89], v[184:185], v[168:171]// 000000007660: D3D700A8 0EA37158
	buffer_load_dwordx4 a[180:183], v39, s[92:95], 0 offen offset:1024// 000000007668: E05C1400 8097B427
	v_mfma_i32_16x16x32_i8 v[168:171], a[90:91], v[186:187], v[168:171]// 000000007670: D3D700A8 0EA3755A
	v_mfma_i32_16x16x32_i8 v[168:171], a[92:93], v[188:189], v[168:171]// 000000007678: D3D700A8 0EA3795C
	v_mfma_i32_16x16x32_i8 v[168:171], a[94:95], v[190:191], v[168:171]// 000000007680: D3D700A8 0EA37D5E
	v_mfma_i32_16x16x32_i8 v[172:175], a[80:81], v[192:193], v[172:175]// 000000007688: D3D700AC 0EB38150
	buffer_load_dwordx4 a[184:187], v39, s[92:95], 0 offen offset:2048// 000000007690: E05C1800 8097B827
	v_mfma_i32_16x16x32_i8 v[172:175], a[82:83], v[194:195], v[172:175]// 000000007698: D3D700AC 0EB38552
	v_mfma_i32_16x16x32_i8 v[172:175], a[84:85], v[196:197], v[172:175]// 0000000076A0: D3D700AC 0EB38954
	v_mfma_i32_16x16x32_i8 v[172:175], a[86:87], v[198:199], v[172:175]// 0000000076A8: D3D700AC 0EB38D56
	v_mfma_i32_16x16x32_i8 v[172:175], a[88:89], v[200:201], v[172:175]// 0000000076B0: D3D700AC 0EB39158
	buffer_load_dwordx4 a[188:191], v39, s[92:95], 0 offen offset:3072// 0000000076B8: E05C1C00 8097BC27
	v_mfma_i32_16x16x32_i8 v[172:175], a[90:91], v[202:203], v[172:175]// 0000000076C0: D3D700AC 0EB3955A
	v_mfma_i32_16x16x32_i8 v[172:175], a[92:93], v[204:205], v[172:175]// 0000000076C8: D3D700AC 0EB3995C
	v_mfma_i32_16x16x32_i8 v[172:175], a[94:95], v[206:207], v[172:175]// 0000000076D0: D3D700AC 0EB39D5E
	s_waitcnt vmcnt(16)                                        // 0000000076D8: BF8C4F70
	s_barrier                                                  // 0000000076DC: BF8A0000
	v_mfma_i32_16x16x32_i8 v[64:67], a[96:97], v[176:177], v[64:67]// 0000000076E0: D3D70040 0D036160
	buffer_load_dwordx4 a[0:3], v34, s[24:27], 0 offen         // 0000000076E8: E05C1000 80860022
	v_mfma_i32_16x16x32_i8 v[64:67], a[98:99], v[178:179], v[64:67]// 0000000076F0: D3D70040 0D036562
	v_mfma_i32_16x16x32_i8 v[64:67], a[100:101], v[180:181], v[64:67]// 0000000076F8: D3D70040 0D036964
	v_mfma_i32_16x16x32_i8 v[64:67], a[102:103], v[182:183], v[64:67]// 000000007700: D3D70040 0D036D66
	v_mfma_i32_16x16x32_i8 v[64:67], a[104:105], v[184:185], v[64:67]// 000000007708: D3D70040 0D037168
	buffer_load_dwordx4 a[4:7], v34, s[24:27], 0 offen offset:1024// 000000007710: E05C1400 80860422
	v_mfma_i32_16x16x32_i8 v[64:67], a[106:107], v[186:187], v[64:67]// 000000007718: D3D70040 0D03756A
	v_mfma_i32_16x16x32_i8 v[64:67], a[108:109], v[188:189], v[64:67]// 000000007720: D3D70040 0D03796C
	v_mfma_i32_16x16x32_i8 v[64:67], a[110:111], v[190:191], v[64:67]// 000000007728: D3D70040 0D037D6E
	v_mfma_i32_16x16x32_i8 v[68:71], a[96:97], v[192:193], v[68:71]// 000000007730: D3D70044 0D138160
	buffer_load_dwordx4 a[8:11], v34, s[24:27], 0 offen offset:2048// 000000007738: E05C1800 80860822
	v_mfma_i32_16x16x32_i8 v[68:71], a[98:99], v[194:195], v[68:71]// 000000007740: D3D70044 0D138562
	v_mfma_i32_16x16x32_i8 v[68:71], a[100:101], v[196:197], v[68:71]// 000000007748: D3D70044 0D138964
	v_mfma_i32_16x16x32_i8 v[68:71], a[102:103], v[198:199], v[68:71]// 000000007750: D3D70044 0D138D66
	v_mfma_i32_16x16x32_i8 v[68:71], a[104:105], v[200:201], v[68:71]// 000000007758: D3D70044 0D139168
	buffer_load_dwordx4 a[12:15], v34, s[24:27], 0 offen offset:3072// 000000007760: E05C1C00 80860C22
	v_mfma_i32_16x16x32_i8 v[68:71], a[106:107], v[202:203], v[68:71]// 000000007768: D3D70044 0D13956A
	v_mfma_i32_16x16x32_i8 v[68:71], a[108:109], v[204:205], v[68:71]// 000000007770: D3D70044 0D13996C
	v_mfma_i32_16x16x32_i8 v[68:71], a[110:111], v[206:207], v[68:71]// 000000007778: D3D70044 0D139D6E
	v_mfma_i32_16x16x32_i8 v[72:75], a[112:113], v[176:177], v[72:75]// 000000007780: D3D70048 0D236170
	buffer_load_dwordx4 a[16:19], v35, s[24:27], 0 offen       // 000000007788: E05C1000 80861023
	v_mfma_i32_16x16x32_i8 v[72:75], a[114:115], v[178:179], v[72:75]// 000000007790: D3D70048 0D236572
	v_mfma_i32_16x16x32_i8 v[72:75], a[116:117], v[180:181], v[72:75]// 000000007798: D3D70048 0D236974
	v_mfma_i32_16x16x32_i8 v[72:75], a[118:119], v[182:183], v[72:75]// 0000000077A0: D3D70048 0D236D76
	v_mfma_i32_16x16x32_i8 v[72:75], a[120:121], v[184:185], v[72:75]// 0000000077A8: D3D70048 0D237178
	buffer_load_dwordx4 a[20:23], v35, s[24:27], 0 offen offset:1024// 0000000077B0: E05C1400 80861423
	v_mfma_i32_16x16x32_i8 v[72:75], a[122:123], v[186:187], v[72:75]// 0000000077B8: D3D70048 0D23757A
	v_mfma_i32_16x16x32_i8 v[72:75], a[124:125], v[188:189], v[72:75]// 0000000077C0: D3D70048 0D23797C
	v_mfma_i32_16x16x32_i8 v[72:75], a[126:127], v[190:191], v[72:75]// 0000000077C8: D3D70048 0D237D7E
	v_mfma_i32_16x16x32_i8 v[76:79], a[112:113], v[192:193], v[76:79]// 0000000077D0: D3D7004C 0D338170
	buffer_load_dwordx4 a[24:27], v35, s[24:27], 0 offen offset:2048// 0000000077D8: E05C1800 80861823
	v_mfma_i32_16x16x32_i8 v[76:79], a[114:115], v[194:195], v[76:79]// 0000000077E0: D3D7004C 0D338572
	v_mfma_i32_16x16x32_i8 v[76:79], a[116:117], v[196:197], v[76:79]// 0000000077E8: D3D7004C 0D338974
	v_mfma_i32_16x16x32_i8 v[76:79], a[118:119], v[198:199], v[76:79]// 0000000077F0: D3D7004C 0D338D76
	v_mfma_i32_16x16x32_i8 v[76:79], a[120:121], v[200:201], v[76:79]// 0000000077F8: D3D7004C 0D339178
	buffer_load_dwordx4 a[28:31], v35, s[24:27], 0 offen offset:3072// 000000007800: E05C1C00 80861C23
	v_mfma_i32_16x16x32_i8 v[76:79], a[122:123], v[202:203], v[76:79]// 000000007808: D3D7004C 0D33957A
	v_mfma_i32_16x16x32_i8 v[76:79], a[124:125], v[204:205], v[76:79]// 000000007810: D3D7004C 0D33997C
	v_mfma_i32_16x16x32_i8 v[76:79], a[126:127], v[206:207], v[76:79]// 000000007818: D3D7004C 0D339D7E
	s_waitcnt vmcnt(20)                                        // 000000007820: BF8C4F74
	v_mfma_i32_16x16x32_i8 v[80:83], a[128:129], v[176:177], v[80:83]// 000000007824: D3D70050 0D436180
	buffer_load_dwordx4 a[32:35], v36, s[24:27], 0 offen       // 00000000782C: E05C1000 80862024
	v_mfma_i32_16x16x32_i8 v[80:83], a[130:131], v[178:179], v[80:83]// 000000007834: D3D70050 0D436582
	v_mfma_i32_16x16x32_i8 v[80:83], a[132:133], v[180:181], v[80:83]// 00000000783C: D3D70050 0D436984
	ds_read_b128 v[208:211], v2 offset:8320                    // 000000007844: D9FE2080 D0000002
	v_mfma_i32_16x16x32_i8 v[80:83], a[134:135], v[182:183], v[80:83]// 00000000784C: D3D70050 0D436D86
	v_mfma_i32_16x16x32_i8 v[80:83], a[136:137], v[184:185], v[80:83]// 000000007854: D3D70050 0D437188
	buffer_load_dwordx4 a[36:39], v36, s[24:27], 0 offen offset:1024// 00000000785C: E05C1400 80862424
	v_mfma_i32_16x16x32_i8 v[80:83], a[138:139], v[186:187], v[80:83]// 000000007864: D3D70050 0D43758A
	v_mfma_i32_16x16x32_i8 v[80:83], a[140:141], v[188:189], v[80:83]// 00000000786C: D3D70050 0D43798C
	ds_read_b128 v[212:215], v2 offset:8384                    // 000000007874: D9FE20C0 D4000002
	v_mfma_i32_16x16x32_i8 v[80:83], a[142:143], v[190:191], v[80:83]// 00000000787C: D3D70050 0D437D8E
	v_mfma_i32_16x16x32_i8 v[84:87], a[128:129], v[192:193], v[84:87]// 000000007884: D3D70054 0D538180
	buffer_load_dwordx4 a[40:43], v36, s[24:27], 0 offen offset:2048// 00000000788C: E05C1800 80862824
	v_mfma_i32_16x16x32_i8 v[84:87], a[130:131], v[194:195], v[84:87]// 000000007894: D3D70054 0D538582
	v_mfma_i32_16x16x32_i8 v[84:87], a[132:133], v[196:197], v[84:87]// 00000000789C: D3D70054 0D538984
	ds_read_b128 v[216:219], v2 offset:8448                    // 0000000078A4: D9FE2100 D8000002
	v_mfma_i32_16x16x32_i8 v[84:87], a[134:135], v[198:199], v[84:87]// 0000000078AC: D3D70054 0D538D86
	v_mfma_i32_16x16x32_i8 v[84:87], a[136:137], v[200:201], v[84:87]// 0000000078B4: D3D70054 0D539188
	buffer_load_dwordx4 a[44:47], v36, s[24:27], 0 offen offset:3072// 0000000078BC: E05C1C00 80862C24
	v_mfma_i32_16x16x32_i8 v[84:87], a[138:139], v[202:203], v[84:87]// 0000000078C4: D3D70054 0D53958A
	v_mfma_i32_16x16x32_i8 v[84:87], a[140:141], v[204:205], v[84:87]// 0000000078CC: D3D70054 0D53998C
	ds_read_b128 v[220:223], v2 offset:8512                    // 0000000078D4: D9FE2140 DC000002
	v_mfma_i32_16x16x32_i8 v[84:87], a[142:143], v[206:207], v[84:87]// 0000000078DC: D3D70054 0D539D8E
	s_waitcnt vmcnt(20)                                        // 0000000078E4: BF8C4F74
	v_mfma_i32_16x16x32_i8 v[88:91], a[144:145], v[176:177], v[88:91]// 0000000078E8: D3D70058 0D636190
	buffer_load_dwordx4 a[48:51], v37, s[24:27], 0 offen       // 0000000078F0: E05C1000 80863025
	v_mfma_i32_16x16x32_i8 v[88:91], a[146:147], v[178:179], v[88:91]// 0000000078F8: D3D70058 0D636592
	v_mfma_i32_16x16x32_i8 v[88:91], a[148:149], v[180:181], v[88:91]// 000000007900: D3D70058 0D636994
	ds_read_b128 v[224:227], v2 offset:9344                    // 000000007908: D9FE2480 E0000002
	v_mfma_i32_16x16x32_i8 v[88:91], a[150:151], v[182:183], v[88:91]// 000000007910: D3D70058 0D636D96
	v_mfma_i32_16x16x32_i8 v[88:91], a[152:153], v[184:185], v[88:91]// 000000007918: D3D70058 0D637198
	buffer_load_dwordx4 a[52:55], v37, s[24:27], 0 offen offset:1024// 000000007920: E05C1400 80863425
	v_mfma_i32_16x16x32_i8 v[88:91], a[154:155], v[186:187], v[88:91]// 000000007928: D3D70058 0D63759A
	v_mfma_i32_16x16x32_i8 v[88:91], a[156:157], v[188:189], v[88:91]// 000000007930: D3D70058 0D63799C
	ds_read_b128 v[228:231], v2 offset:9408                    // 000000007938: D9FE24C0 E4000002
	v_mfma_i32_16x16x32_i8 v[88:91], a[158:159], v[190:191], v[88:91]// 000000007940: D3D70058 0D637D9E
	v_mfma_i32_16x16x32_i8 v[92:95], a[144:145], v[192:193], v[92:95]// 000000007948: D3D7005C 0D738190
	buffer_load_dwordx4 a[56:59], v37, s[24:27], 0 offen offset:2048// 000000007950: E05C1800 80863825
	v_mfma_i32_16x16x32_i8 v[92:95], a[146:147], v[194:195], v[92:95]// 000000007958: D3D7005C 0D738592
	v_mfma_i32_16x16x32_i8 v[92:95], a[148:149], v[196:197], v[92:95]// 000000007960: D3D7005C 0D738994
	ds_read_b128 v[232:235], v2 offset:9472                    // 000000007968: D9FE2500 E8000002
	v_mfma_i32_16x16x32_i8 v[92:95], a[150:151], v[198:199], v[92:95]// 000000007970: D3D7005C 0D738D96
	v_mfma_i32_16x16x32_i8 v[92:95], a[152:153], v[200:201], v[92:95]// 000000007978: D3D7005C 0D739198
	buffer_load_dwordx4 a[60:63], v37, s[24:27], 0 offen offset:3072// 000000007980: E05C1C00 80863C25
	v_mfma_i32_16x16x32_i8 v[92:95], a[154:155], v[202:203], v[92:95]// 000000007988: D3D7005C 0D73959A
	v_mfma_i32_16x16x32_i8 v[92:95], a[156:157], v[204:205], v[92:95]// 000000007990: D3D7005C 0D73999C
	ds_read_b128 v[236:239], v2 offset:9536                    // 000000007998: D9FE2540 EC000002
	v_mfma_i32_16x16x32_i8 v[92:95], a[158:159], v[206:207], v[92:95]// 0000000079A0: D3D7005C 0D739D9E
	s_waitcnt vmcnt(20)                                        // 0000000079A8: BF8C4F74
	v_mfma_i32_16x16x32_i8 v[96:99], a[160:161], v[176:177], v[96:99]// 0000000079AC: D3D70060 0D8361A0
	buffer_load_dwordx4 a[64:67], v38, s[24:27], 0 offen       // 0000000079B4: E05C1000 80864026
	v_mfma_i32_16x16x32_i8 v[96:99], a[162:163], v[178:179], v[96:99]// 0000000079BC: D3D70060 0D8365A2
	v_mfma_i32_16x16x32_i8 v[96:99], a[164:165], v[180:181], v[96:99]// 0000000079C4: D3D70060 0D8369A4
	v_mfma_i32_16x16x32_i8 v[96:99], a[166:167], v[182:183], v[96:99]// 0000000079CC: D3D70060 0D836DA6
	v_mfma_i32_16x16x32_i8 v[96:99], a[168:169], v[184:185], v[96:99]// 0000000079D4: D3D70060 0D8371A8
	buffer_load_dwordx4 a[68:71], v38, s[24:27], 0 offen offset:1024// 0000000079DC: E05C1400 80864426
	v_mfma_i32_16x16x32_i8 v[96:99], a[170:171], v[186:187], v[96:99]// 0000000079E4: D3D70060 0D8375AA
	v_mfma_i32_16x16x32_i8 v[96:99], a[172:173], v[188:189], v[96:99]// 0000000079EC: D3D70060 0D8379AC
	v_mfma_i32_16x16x32_i8 v[96:99], a[174:175], v[190:191], v[96:99]// 0000000079F4: D3D70060 0D837DAE
	v_mfma_i32_16x16x32_i8 v[100:103], a[160:161], v[192:193], v[100:103]// 0000000079FC: D3D70064 0D9381A0
	buffer_load_dwordx4 a[72:75], v38, s[24:27], 0 offen offset:2048// 000000007A04: E05C1800 80864826
	v_mfma_i32_16x16x32_i8 v[100:103], a[162:163], v[194:195], v[100:103]// 000000007A0C: D3D70064 0D9385A2
	v_mfma_i32_16x16x32_i8 v[100:103], a[164:165], v[196:197], v[100:103]// 000000007A14: D3D70064 0D9389A4
	v_mfma_i32_16x16x32_i8 v[100:103], a[166:167], v[198:199], v[100:103]// 000000007A1C: D3D70064 0D938DA6
	v_mfma_i32_16x16x32_i8 v[100:103], a[168:169], v[200:201], v[100:103]// 000000007A24: D3D70064 0D9391A8
	buffer_load_dwordx4 a[76:79], v38, s[24:27], 0 offen offset:3072// 000000007A2C: E05C1C00 80864C26
	v_mfma_i32_16x16x32_i8 v[100:103], a[170:171], v[202:203], v[100:103]// 000000007A34: D3D70064 0D9395AA
	v_mfma_i32_16x16x32_i8 v[100:103], a[172:173], v[204:205], v[100:103]// 000000007A3C: D3D70064 0D9399AC
	v_mfma_i32_16x16x32_i8 v[100:103], a[174:175], v[206:207], v[100:103]// 000000007A44: D3D70064 0D939DAE
	s_waitcnt vmcnt(20)                                        // 000000007A4C: BF8C4F74
	v_mfma_i32_16x16x32_i8 v[104:107], a[176:177], v[176:177], v[104:107]// 000000007A50: D3D70068 0DA361B0
	buffer_load_dwordx4 a[80:83], v39, s[24:27], 0 offen       // 000000007A58: E05C1000 80865027
	v_mfma_i32_16x16x32_i8 v[104:107], a[178:179], v[178:179], v[104:107]// 000000007A60: D3D70068 0DA365B2
	v_mfma_i32_16x16x32_i8 v[104:107], a[180:181], v[180:181], v[104:107]// 000000007A68: D3D70068 0DA369B4
	v_mfma_i32_16x16x32_i8 v[104:107], a[182:183], v[182:183], v[104:107]// 000000007A70: D3D70068 0DA36DB6
	v_mfma_i32_16x16x32_i8 v[104:107], a[184:185], v[184:185], v[104:107]// 000000007A78: D3D70068 0DA371B8
	buffer_load_dwordx4 a[84:87], v39, s[24:27], 0 offen offset:1024// 000000007A80: E05C1400 80865427
	v_mfma_i32_16x16x32_i8 v[104:107], a[186:187], v[186:187], v[104:107]// 000000007A88: D3D70068 0DA375BA
	v_mfma_i32_16x16x32_i8 v[104:107], a[188:189], v[188:189], v[104:107]// 000000007A90: D3D70068 0DA379BC
	v_mfma_i32_16x16x32_i8 v[104:107], a[190:191], v[190:191], v[104:107]// 000000007A98: D3D70068 0DA37DBE
	v_mfma_i32_16x16x32_i8 v[108:111], a[176:177], v[192:193], v[108:111]// 000000007AA0: D3D7006C 0DB381B0
	buffer_load_dwordx4 a[88:91], v39, s[24:27], 0 offen offset:2048// 000000007AA8: E05C1800 80865827
	v_mfma_i32_16x16x32_i8 v[108:111], a[178:179], v[194:195], v[108:111]// 000000007AB0: D3D7006C 0DB385B2
	v_mfma_i32_16x16x32_i8 v[108:111], a[180:181], v[196:197], v[108:111]// 000000007AB8: D3D7006C 0DB389B4
	v_mfma_i32_16x16x32_i8 v[108:111], a[182:183], v[198:199], v[108:111]// 000000007AC0: D3D7006C 0DB38DB6
	v_mfma_i32_16x16x32_i8 v[108:111], a[184:185], v[200:201], v[108:111]// 000000007AC8: D3D7006C 0DB391B8
	buffer_load_dwordx4 a[92:95], v39, s[24:27], 0 offen offset:3072// 000000007AD0: E05C1C00 80865C27
	v_mfma_i32_16x16x32_i8 v[108:111], a[186:187], v[202:203], v[108:111]// 000000007AD8: D3D7006C 0DB395BA
	v_mfma_i32_16x16x32_i8 v[108:111], a[188:189], v[204:205], v[108:111]// 000000007AE0: D3D7006C 0DB399BC
	v_mfma_i32_16x16x32_i8 v[108:111], a[190:191], v[206:207], v[108:111]// 000000007AE8: D3D7006C 0DB39DBE
	s_add_u32 s60, 0x200, s80                                  // 000000007AF0: 803C50FF 00000200
	s_cmp_lt_u32 s60, s81                                      // 000000007AF8: BF0A513C
	s_cselect_b32 s57, s57, 0                                  // 000000007AFC: 85398039
	s_add_u32 s60, 0x200, s80                                  // 000000007B00: 803C50FF 00000200
	s_cmp_lt_u32 s60, s81                                      // 000000007B08: BF0A513C
	s_cselect_b32 s58, s58, 0                                  // 000000007B0C: 853A803A
	s_add_u32 s20, s57, s20                                    // 000000007B10: 80141439
	s_addc_u32 s21, 0, s21                                     // 000000007B14: 82151580
	s_add_u32 s24, s58, s24                                    // 000000007B18: 8018183A
	s_addc_u32 s25, 0, s25                                     // 000000007B1C: 82191980
	s_add_u32 s92, s90, s92                                    // 000000007B20: 805C5C5A
	s_addc_u32 s93, 0, s93                                     // 000000007B24: 825D5D80
	s_addk_i32 s80, 0x100                                      // 000000007B28: B7500100
	s_cmp_lt_i32 s80, s81                                      // 000000007B2C: BF045150
	s_cbranch_scc0 label_157A                                  // 000000007B30: BF84022D
	s_waitcnt vmcnt(16) lgkmcnt(0)                             // 000000007B34: BF8C4070
	s_barrier                                                  // 000000007B38: BF8A0000
	v_mfma_i32_16x16x32_i8 v[128:131], a[0:1], v[208:209], v[128:131]// 000000007B3C: D3D70080 0E03A100
	buffer_load_dwordx4 a[96:99], v34, s[92:95], 0 offen       // 000000007B44: E05C1000 80976022
	v_mfma_i32_16x16x32_i8 v[128:131], a[2:3], v[210:211], v[128:131]// 000000007B4C: D3D70080 0E03A502
	v_mfma_i32_16x16x32_i8 v[128:131], a[4:5], v[212:213], v[128:131]// 000000007B54: D3D70080 0E03A904
	buffer_load_dword v26, s[20:23], 0 offen lds               // 000000007B5C: E0511000 8005001A
	s_add_u32 m0, 0x100, s50                                   // 000000007B64: 807C32FF 00000100
	v_mfma_i32_16x16x32_i8 v[128:131], a[6:7], v[214:215], v[128:131]// 000000007B6C: D3D70080 0E03AD06
	v_mfma_i32_16x16x32_i8 v[128:131], a[8:9], v[216:217], v[128:131]// 000000007B74: D3D70080 0E03B108
	buffer_load_dwordx4 a[100:103], v34, s[92:95], 0 offen offset:1024// 000000007B7C: E05C1400 80976422
	v_mfma_i32_16x16x32_i8 v[128:131], a[10:11], v[218:219], v[128:131]// 000000007B84: D3D70080 0E03B50A
	v_mfma_i32_16x16x32_i8 v[128:131], a[12:13], v[220:221], v[128:131]// 000000007B8C: D3D70080 0E03B90C
	buffer_load_dword v27, s[20:23], 0 offen lds               // 000000007B94: E0511000 8005001B
	s_add_u32 m0, 0x200, s50                                   // 000000007B9C: 807C32FF 00000200
	v_mfma_i32_16x16x32_i8 v[128:131], a[14:15], v[222:223], v[128:131]// 000000007BA4: D3D70080 0E03BD0E
	v_mfma_i32_16x16x32_i8 v[132:135], a[0:1], v[224:225], v[132:135]// 000000007BAC: D3D70084 0E13C100
	buffer_load_dwordx4 a[104:107], v34, s[92:95], 0 offen offset:2048// 000000007BB4: E05C1800 80976822
	v_mfma_i32_16x16x32_i8 v[132:135], a[2:3], v[226:227], v[132:135]// 000000007BBC: D3D70084 0E13C502
	v_mfma_i32_16x16x32_i8 v[132:135], a[4:5], v[228:229], v[132:135]// 000000007BC4: D3D70084 0E13C904
	buffer_load_dword v28, s[20:23], 0 offen lds               // 000000007BCC: E0511000 8005001C
	s_add_u32 m0, 0x300, s50                                   // 000000007BD4: 807C32FF 00000300
	v_mfma_i32_16x16x32_i8 v[132:135], a[6:7], v[230:231], v[132:135]// 000000007BDC: D3D70084 0E13CD06
	v_mfma_i32_16x16x32_i8 v[132:135], a[8:9], v[232:233], v[132:135]// 000000007BE4: D3D70084 0E13D108
	buffer_load_dwordx4 a[108:111], v34, s[92:95], 0 offen offset:3072// 000000007BEC: E05C1C00 80976C22
	v_mfma_i32_16x16x32_i8 v[132:135], a[10:11], v[234:235], v[132:135]// 000000007BF4: D3D70084 0E13D50A
	v_mfma_i32_16x16x32_i8 v[132:135], a[12:13], v[236:237], v[132:135]// 000000007BFC: D3D70084 0E13D90C
	buffer_load_dword v29, s[20:23], 0 offen lds               // 000000007C04: E0511000 8005001D
	s_add_u32 m0, 0x400, s50                                   // 000000007C0C: 807C32FF 00000400
	v_mfma_i32_16x16x32_i8 v[132:135], a[14:15], v[238:239], v[132:135]// 000000007C14: D3D70084 0E13DD0E
	v_mfma_i32_16x16x32_i8 v[136:139], a[16:17], v[208:209], v[136:139]// 000000007C1C: D3D70088 0E23A110
	buffer_load_dwordx4 a[112:115], v35, s[92:95], 0 offen     // 000000007C24: E05C1000 80977023
	v_mfma_i32_16x16x32_i8 v[136:139], a[18:19], v[210:211], v[136:139]// 000000007C2C: D3D70088 0E23A512
	v_mfma_i32_16x16x32_i8 v[136:139], a[20:21], v[212:213], v[136:139]// 000000007C34: D3D70088 0E23A914
	buffer_load_dword v30, s[20:23], 0 offen lds               // 000000007C3C: E0511000 8005001E
	s_add_u32 m0, 0x500, s50                                   // 000000007C44: 807C32FF 00000500
	v_mfma_i32_16x16x32_i8 v[136:139], a[22:23], v[214:215], v[136:139]// 000000007C4C: D3D70088 0E23AD16
	v_mfma_i32_16x16x32_i8 v[136:139], a[24:25], v[216:217], v[136:139]// 000000007C54: D3D70088 0E23B118
	buffer_load_dwordx4 a[116:119], v35, s[92:95], 0 offen offset:1024// 000000007C5C: E05C1400 80977423
	v_mfma_i32_16x16x32_i8 v[136:139], a[26:27], v[218:219], v[136:139]// 000000007C64: D3D70088 0E23B51A
	v_mfma_i32_16x16x32_i8 v[136:139], a[28:29], v[220:221], v[136:139]// 000000007C6C: D3D70088 0E23B91C
	buffer_load_dword v31, s[20:23], 0 offen lds               // 000000007C74: E0511000 8005001F
	s_add_u32 m0, 0x600, s50                                   // 000000007C7C: 807C32FF 00000600
	v_mfma_i32_16x16x32_i8 v[136:139], a[30:31], v[222:223], v[136:139]// 000000007C84: D3D70088 0E23BD1E
	v_mfma_i32_16x16x32_i8 v[140:143], a[16:17], v[224:225], v[140:143]// 000000007C8C: D3D7008C 0E33C110
	buffer_load_dwordx4 a[120:123], v35, s[92:95], 0 offen offset:2048// 000000007C94: E05C1800 80977823
	v_mfma_i32_16x16x32_i8 v[140:143], a[18:19], v[226:227], v[140:143]// 000000007C9C: D3D7008C 0E33C512
	v_mfma_i32_16x16x32_i8 v[140:143], a[20:21], v[228:229], v[140:143]// 000000007CA4: D3D7008C 0E33C914
	buffer_load_dword v32, s[20:23], 0 offen lds               // 000000007CAC: E0511000 80050020
	s_add_u32 m0, 0x700, s50                                   // 000000007CB4: 807C32FF 00000700
	v_mfma_i32_16x16x32_i8 v[140:143], a[22:23], v[230:231], v[140:143]// 000000007CBC: D3D7008C 0E33CD16
	v_mfma_i32_16x16x32_i8 v[140:143], a[24:25], v[232:233], v[140:143]// 000000007CC4: D3D7008C 0E33D118
	buffer_load_dwordx4 a[124:127], v35, s[92:95], 0 offen offset:3072// 000000007CCC: E05C1C00 80977C23
	v_mfma_i32_16x16x32_i8 v[140:143], a[26:27], v[234:235], v[140:143]// 000000007CD4: D3D7008C 0E33D51A
	v_mfma_i32_16x16x32_i8 v[140:143], a[28:29], v[236:237], v[140:143]// 000000007CDC: D3D7008C 0E33D91C
	buffer_load_dword v33, s[20:23], 0 offen lds               // 000000007CE4: E0511000 80050021
	s_add_u32 m0, 0, s51                                       // 000000007CEC: 807C3380
	v_mfma_i32_16x16x32_i8 v[140:143], a[30:31], v[238:239], v[140:143]// 000000007CF0: D3D7008C 0E33DD1E
	s_waitcnt vmcnt(28)                                        // 000000007CF8: BF8C4F7C
	v_mfma_i32_16x16x32_i8 v[144:147], a[32:33], v[208:209], v[144:147]// 000000007CFC: D3D70090 0E43A120
	buffer_load_dwordx4 a[128:131], v36, s[92:95], 0 offen     // 000000007D04: E05C1000 80978024
	v_mfma_i32_16x16x32_i8 v[144:147], a[34:35], v[210:211], v[144:147]// 000000007D0C: D3D70090 0E43A522
	v_mfma_i32_16x16x32_i8 v[144:147], a[36:37], v[212:213], v[144:147]// 000000007D14: D3D70090 0E43A924
	v_mfma_i32_16x16x32_i8 v[144:147], a[38:39], v[214:215], v[144:147]// 000000007D1C: D3D70090 0E43AD26
	v_mfma_i32_16x16x32_i8 v[144:147], a[40:41], v[216:217], v[144:147]// 000000007D24: D3D70090 0E43B128
	buffer_load_dwordx4 a[132:135], v36, s[92:95], 0 offen offset:1024// 000000007D2C: E05C1400 80978424
	v_mfma_i32_16x16x32_i8 v[144:147], a[42:43], v[218:219], v[144:147]// 000000007D34: D3D70090 0E43B52A
	v_mfma_i32_16x16x32_i8 v[144:147], a[44:45], v[220:221], v[144:147]// 000000007D3C: D3D70090 0E43B92C
	v_mfma_i32_16x16x32_i8 v[144:147], a[46:47], v[222:223], v[144:147]// 000000007D44: D3D70090 0E43BD2E
	v_mfma_i32_16x16x32_i8 v[148:151], a[32:33], v[224:225], v[148:151]// 000000007D4C: D3D70094 0E53C120
	buffer_load_dwordx4 a[136:139], v36, s[92:95], 0 offen offset:2048// 000000007D54: E05C1800 80978824
	v_mfma_i32_16x16x32_i8 v[148:151], a[34:35], v[226:227], v[148:151]// 000000007D5C: D3D70094 0E53C522
	v_mfma_i32_16x16x32_i8 v[148:151], a[36:37], v[228:229], v[148:151]// 000000007D64: D3D70094 0E53C924
	v_mfma_i32_16x16x32_i8 v[148:151], a[38:39], v[230:231], v[148:151]// 000000007D6C: D3D70094 0E53CD26
	v_mfma_i32_16x16x32_i8 v[148:151], a[40:41], v[232:233], v[148:151]// 000000007D74: D3D70094 0E53D128
	buffer_load_dwordx4 a[140:143], v36, s[92:95], 0 offen offset:3072// 000000007D7C: E05C1C00 80978C24
	v_mfma_i32_16x16x32_i8 v[148:151], a[42:43], v[234:235], v[148:151]// 000000007D84: D3D70094 0E53D52A
	v_mfma_i32_16x16x32_i8 v[148:151], a[44:45], v[236:237], v[148:151]// 000000007D8C: D3D70094 0E53D92C
	v_mfma_i32_16x16x32_i8 v[148:151], a[46:47], v[238:239], v[148:151]// 000000007D94: D3D70094 0E53DD2E
	s_waitcnt vmcnt(28)                                        // 000000007D9C: BF8C4F7C
	v_mfma_i32_16x16x32_i8 v[152:155], a[48:49], v[208:209], v[152:155]// 000000007DA0: D3D70098 0E63A130
	buffer_load_dwordx4 a[144:147], v37, s[92:95], 0 offen     // 000000007DA8: E05C1000 80979025
	v_mfma_i32_16x16x32_i8 v[152:155], a[50:51], v[210:211], v[152:155]// 000000007DB0: D3D70098 0E63A532
	v_mfma_i32_16x16x32_i8 v[152:155], a[52:53], v[212:213], v[152:155]// 000000007DB8: D3D70098 0E63A934
	v_mfma_i32_16x16x32_i8 v[152:155], a[54:55], v[214:215], v[152:155]// 000000007DC0: D3D70098 0E63AD36
	v_mfma_i32_16x16x32_i8 v[152:155], a[56:57], v[216:217], v[152:155]// 000000007DC8: D3D70098 0E63B138
	buffer_load_dwordx4 a[148:151], v37, s[92:95], 0 offen offset:1024// 000000007DD0: E05C1400 80979425
	v_mfma_i32_16x16x32_i8 v[152:155], a[58:59], v[218:219], v[152:155]// 000000007DD8: D3D70098 0E63B53A
	v_mfma_i32_16x16x32_i8 v[152:155], a[60:61], v[220:221], v[152:155]// 000000007DE0: D3D70098 0E63B93C
	v_mfma_i32_16x16x32_i8 v[152:155], a[62:63], v[222:223], v[152:155]// 000000007DE8: D3D70098 0E63BD3E
	v_mfma_i32_16x16x32_i8 v[156:159], a[48:49], v[224:225], v[156:159]// 000000007DF0: D3D7009C 0E73C130
	buffer_load_dwordx4 a[152:155], v37, s[92:95], 0 offen offset:2048// 000000007DF8: E05C1800 80979825
	v_mfma_i32_16x16x32_i8 v[156:159], a[50:51], v[226:227], v[156:159]// 000000007E00: D3D7009C 0E73C532
	v_mfma_i32_16x16x32_i8 v[156:159], a[52:53], v[228:229], v[156:159]// 000000007E08: D3D7009C 0E73C934
	v_mfma_i32_16x16x32_i8 v[156:159], a[54:55], v[230:231], v[156:159]// 000000007E10: D3D7009C 0E73CD36
	v_mfma_i32_16x16x32_i8 v[156:159], a[56:57], v[232:233], v[156:159]// 000000007E18: D3D7009C 0E73D138
	buffer_load_dwordx4 a[156:159], v37, s[92:95], 0 offen offset:3072// 000000007E20: E05C1C00 80979C25
	v_mfma_i32_16x16x32_i8 v[156:159], a[58:59], v[234:235], v[156:159]// 000000007E28: D3D7009C 0E73D53A
	v_mfma_i32_16x16x32_i8 v[156:159], a[60:61], v[236:237], v[156:159]// 000000007E30: D3D7009C 0E73D93C
	v_mfma_i32_16x16x32_i8 v[156:159], a[62:63], v[238:239], v[156:159]// 000000007E38: D3D7009C 0E73DD3E
	s_waitcnt vmcnt(28)                                        // 000000007E40: BF8C4F7C
	v_mfma_i32_16x16x32_i8 v[160:163], a[64:65], v[208:209], v[160:163]// 000000007E44: D3D700A0 0E83A140
	buffer_load_dwordx4 a[160:163], v38, s[92:95], 0 offen     // 000000007E4C: E05C1000 8097A026
	v_mfma_i32_16x16x32_i8 v[160:163], a[66:67], v[210:211], v[160:163]// 000000007E54: D3D700A0 0E83A542
	v_mfma_i32_16x16x32_i8 v[160:163], a[68:69], v[212:213], v[160:163]// 000000007E5C: D3D700A0 0E83A944
	v_mfma_i32_16x16x32_i8 v[160:163], a[70:71], v[214:215], v[160:163]// 000000007E64: D3D700A0 0E83AD46
	v_mfma_i32_16x16x32_i8 v[160:163], a[72:73], v[216:217], v[160:163]// 000000007E6C: D3D700A0 0E83B148
	buffer_load_dwordx4 a[164:167], v38, s[92:95], 0 offen offset:1024// 000000007E74: E05C1400 8097A426
	v_mfma_i32_16x16x32_i8 v[160:163], a[74:75], v[218:219], v[160:163]// 000000007E7C: D3D700A0 0E83B54A
	v_mfma_i32_16x16x32_i8 v[160:163], a[76:77], v[220:221], v[160:163]// 000000007E84: D3D700A0 0E83B94C
	v_mfma_i32_16x16x32_i8 v[160:163], a[78:79], v[222:223], v[160:163]// 000000007E8C: D3D700A0 0E83BD4E
	v_mfma_i32_16x16x32_i8 v[164:167], a[64:65], v[224:225], v[164:167]// 000000007E94: D3D700A4 0E93C140
	buffer_load_dwordx4 a[168:171], v38, s[92:95], 0 offen offset:2048// 000000007E9C: E05C1800 8097A826
	v_mfma_i32_16x16x32_i8 v[164:167], a[66:67], v[226:227], v[164:167]// 000000007EA4: D3D700A4 0E93C542
	v_mfma_i32_16x16x32_i8 v[164:167], a[68:69], v[228:229], v[164:167]// 000000007EAC: D3D700A4 0E93C944
	v_mfma_i32_16x16x32_i8 v[164:167], a[70:71], v[230:231], v[164:167]// 000000007EB4: D3D700A4 0E93CD46
	v_mfma_i32_16x16x32_i8 v[164:167], a[72:73], v[232:233], v[164:167]// 000000007EBC: D3D700A4 0E93D148
	buffer_load_dwordx4 a[172:175], v38, s[92:95], 0 offen offset:3072// 000000007EC4: E05C1C00 8097AC26
	v_mfma_i32_16x16x32_i8 v[164:167], a[74:75], v[234:235], v[164:167]// 000000007ECC: D3D700A4 0E93D54A
	v_mfma_i32_16x16x32_i8 v[164:167], a[76:77], v[236:237], v[164:167]// 000000007ED4: D3D700A4 0E93D94C
	v_mfma_i32_16x16x32_i8 v[164:167], a[78:79], v[238:239], v[164:167]// 000000007EDC: D3D700A4 0E93DD4E
	s_waitcnt vmcnt(28)                                        // 000000007EE4: BF8C4F7C
	v_mfma_i32_16x16x32_i8 v[168:171], a[80:81], v[208:209], v[168:171]// 000000007EE8: D3D700A8 0EA3A150
	buffer_load_dwordx4 a[176:179], v39, s[92:95], 0 offen     // 000000007EF0: E05C1000 8097B027
	v_mfma_i32_16x16x32_i8 v[168:171], a[82:83], v[210:211], v[168:171]// 000000007EF8: D3D700A8 0EA3A552
	v_mfma_i32_16x16x32_i8 v[168:171], a[84:85], v[212:213], v[168:171]// 000000007F00: D3D700A8 0EA3A954
	v_mfma_i32_16x16x32_i8 v[168:171], a[86:87], v[214:215], v[168:171]// 000000007F08: D3D700A8 0EA3AD56
	v_mfma_i32_16x16x32_i8 v[168:171], a[88:89], v[216:217], v[168:171]// 000000007F10: D3D700A8 0EA3B158
	buffer_load_dwordx4 a[180:183], v39, s[92:95], 0 offen offset:1024// 000000007F18: E05C1400 8097B427
	v_mfma_i32_16x16x32_i8 v[168:171], a[90:91], v[218:219], v[168:171]// 000000007F20: D3D700A8 0EA3B55A
	v_mfma_i32_16x16x32_i8 v[168:171], a[92:93], v[220:221], v[168:171]// 000000007F28: D3D700A8 0EA3B95C
	v_mfma_i32_16x16x32_i8 v[168:171], a[94:95], v[222:223], v[168:171]// 000000007F30: D3D700A8 0EA3BD5E
	v_mfma_i32_16x16x32_i8 v[172:175], a[80:81], v[224:225], v[172:175]// 000000007F38: D3D700AC 0EB3C150
	buffer_load_dwordx4 a[184:187], v39, s[92:95], 0 offen offset:2048// 000000007F40: E05C1800 8097B827
	v_mfma_i32_16x16x32_i8 v[172:175], a[82:83], v[226:227], v[172:175]// 000000007F48: D3D700AC 0EB3C552
	v_mfma_i32_16x16x32_i8 v[172:175], a[84:85], v[228:229], v[172:175]// 000000007F50: D3D700AC 0EB3C954
	v_mfma_i32_16x16x32_i8 v[172:175], a[86:87], v[230:231], v[172:175]// 000000007F58: D3D700AC 0EB3CD56
	v_mfma_i32_16x16x32_i8 v[172:175], a[88:89], v[232:233], v[172:175]// 000000007F60: D3D700AC 0EB3D158
	buffer_load_dwordx4 a[188:191], v39, s[92:95], 0 offen offset:3072// 000000007F68: E05C1C00 8097BC27
	v_mfma_i32_16x16x32_i8 v[172:175], a[90:91], v[234:235], v[172:175]// 000000007F70: D3D700AC 0EB3D55A
	v_mfma_i32_16x16x32_i8 v[172:175], a[92:93], v[236:237], v[172:175]// 000000007F78: D3D700AC 0EB3D95C
	v_mfma_i32_16x16x32_i8 v[172:175], a[94:95], v[238:239], v[172:175]// 000000007F80: D3D700AC 0EB3DD5E
	s_waitcnt vmcnt(16)                                        // 000000007F88: BF8C4F70
	s_barrier                                                  // 000000007F8C: BF8A0000
	v_mfma_i32_16x16x32_i8 v[64:67], a[96:97], v[208:209], v[64:67]// 000000007F90: D3D70040 0D03A160
	buffer_load_dwordx4 a[0:3], v34, s[24:27], 0 offen         // 000000007F98: E05C1000 80860022
	v_mfma_i32_16x16x32_i8 v[64:67], a[98:99], v[210:211], v[64:67]// 000000007FA0: D3D70040 0D03A562
	v_mfma_i32_16x16x32_i8 v[64:67], a[100:101], v[212:213], v[64:67]// 000000007FA8: D3D70040 0D03A964
	v_mfma_i32_16x16x32_i8 v[64:67], a[102:103], v[214:215], v[64:67]// 000000007FB0: D3D70040 0D03AD66
	v_mfma_i32_16x16x32_i8 v[64:67], a[104:105], v[216:217], v[64:67]// 000000007FB8: D3D70040 0D03B168
	buffer_load_dwordx4 a[4:7], v34, s[24:27], 0 offen offset:1024// 000000007FC0: E05C1400 80860422
	v_mfma_i32_16x16x32_i8 v[64:67], a[106:107], v[218:219], v[64:67]// 000000007FC8: D3D70040 0D03B56A
	v_mfma_i32_16x16x32_i8 v[64:67], a[108:109], v[220:221], v[64:67]// 000000007FD0: D3D70040 0D03B96C
	v_mfma_i32_16x16x32_i8 v[64:67], a[110:111], v[222:223], v[64:67]// 000000007FD8: D3D70040 0D03BD6E
	v_mfma_i32_16x16x32_i8 v[68:71], a[96:97], v[224:225], v[68:71]// 000000007FE0: D3D70044 0D13C160
	buffer_load_dwordx4 a[8:11], v34, s[24:27], 0 offen offset:2048// 000000007FE8: E05C1800 80860822
	v_mfma_i32_16x16x32_i8 v[68:71], a[98:99], v[226:227], v[68:71]// 000000007FF0: D3D70044 0D13C562
	v_mfma_i32_16x16x32_i8 v[68:71], a[100:101], v[228:229], v[68:71]// 000000007FF8: D3D70044 0D13C964
	v_mfma_i32_16x16x32_i8 v[68:71], a[102:103], v[230:231], v[68:71]// 000000008000: D3D70044 0D13CD66
	v_mfma_i32_16x16x32_i8 v[68:71], a[104:105], v[232:233], v[68:71]// 000000008008: D3D70044 0D13D168
	buffer_load_dwordx4 a[12:15], v34, s[24:27], 0 offen offset:3072// 000000008010: E05C1C00 80860C22
	v_mfma_i32_16x16x32_i8 v[68:71], a[106:107], v[234:235], v[68:71]// 000000008018: D3D70044 0D13D56A
	v_mfma_i32_16x16x32_i8 v[68:71], a[108:109], v[236:237], v[68:71]// 000000008020: D3D70044 0D13D96C
	v_mfma_i32_16x16x32_i8 v[68:71], a[110:111], v[238:239], v[68:71]// 000000008028: D3D70044 0D13DD6E
	v_mfma_i32_16x16x32_i8 v[72:75], a[112:113], v[208:209], v[72:75]// 000000008030: D3D70048 0D23A170
	buffer_load_dwordx4 a[16:19], v35, s[24:27], 0 offen       // 000000008038: E05C1000 80861023
	v_mfma_i32_16x16x32_i8 v[72:75], a[114:115], v[210:211], v[72:75]// 000000008040: D3D70048 0D23A572
	v_mfma_i32_16x16x32_i8 v[72:75], a[116:117], v[212:213], v[72:75]// 000000008048: D3D70048 0D23A974
	v_mfma_i32_16x16x32_i8 v[72:75], a[118:119], v[214:215], v[72:75]// 000000008050: D3D70048 0D23AD76
	v_mfma_i32_16x16x32_i8 v[72:75], a[120:121], v[216:217], v[72:75]// 000000008058: D3D70048 0D23B178
	buffer_load_dwordx4 a[20:23], v35, s[24:27], 0 offen offset:1024// 000000008060: E05C1400 80861423
	v_mfma_i32_16x16x32_i8 v[72:75], a[122:123], v[218:219], v[72:75]// 000000008068: D3D70048 0D23B57A
	v_mfma_i32_16x16x32_i8 v[72:75], a[124:125], v[220:221], v[72:75]// 000000008070: D3D70048 0D23B97C
	v_mfma_i32_16x16x32_i8 v[72:75], a[126:127], v[222:223], v[72:75]// 000000008078: D3D70048 0D23BD7E
	v_mfma_i32_16x16x32_i8 v[76:79], a[112:113], v[224:225], v[76:79]// 000000008080: D3D7004C 0D33C170
	buffer_load_dwordx4 a[24:27], v35, s[24:27], 0 offen offset:2048// 000000008088: E05C1800 80861823
	v_mfma_i32_16x16x32_i8 v[76:79], a[114:115], v[226:227], v[76:79]// 000000008090: D3D7004C 0D33C572
	v_mfma_i32_16x16x32_i8 v[76:79], a[116:117], v[228:229], v[76:79]// 000000008098: D3D7004C 0D33C974
	v_mfma_i32_16x16x32_i8 v[76:79], a[118:119], v[230:231], v[76:79]// 0000000080A0: D3D7004C 0D33CD76
	v_mfma_i32_16x16x32_i8 v[76:79], a[120:121], v[232:233], v[76:79]// 0000000080A8: D3D7004C 0D33D178
	buffer_load_dwordx4 a[28:31], v35, s[24:27], 0 offen offset:3072// 0000000080B0: E05C1C00 80861C23
	v_mfma_i32_16x16x32_i8 v[76:79], a[122:123], v[234:235], v[76:79]// 0000000080B8: D3D7004C 0D33D57A
	v_mfma_i32_16x16x32_i8 v[76:79], a[124:125], v[236:237], v[76:79]// 0000000080C0: D3D7004C 0D33D97C
	v_mfma_i32_16x16x32_i8 v[76:79], a[126:127], v[238:239], v[76:79]// 0000000080C8: D3D7004C 0D33DD7E
	s_waitcnt vmcnt(20)                                        // 0000000080D0: BF8C4F74
	v_mfma_i32_16x16x32_i8 v[80:83], a[128:129], v[208:209], v[80:83]// 0000000080D4: D3D70050 0D43A180
	buffer_load_dwordx4 a[32:35], v36, s[24:27], 0 offen       // 0000000080DC: E05C1000 80862024
	v_mfma_i32_16x16x32_i8 v[80:83], a[130:131], v[210:211], v[80:83]// 0000000080E4: D3D70050 0D43A582
	v_mfma_i32_16x16x32_i8 v[80:83], a[132:133], v[212:213], v[80:83]// 0000000080EC: D3D70050 0D43A984
	ds_read_b128 v[176:179], v2                                // 0000000080F4: D9FE0000 B0000002
	v_mfma_i32_16x16x32_i8 v[80:83], a[134:135], v[214:215], v[80:83]// 0000000080FC: D3D70050 0D43AD86
	v_mfma_i32_16x16x32_i8 v[80:83], a[136:137], v[216:217], v[80:83]// 000000008104: D3D70050 0D43B188
	buffer_load_dwordx4 a[36:39], v36, s[24:27], 0 offen offset:1024// 00000000810C: E05C1400 80862424
	v_mfma_i32_16x16x32_i8 v[80:83], a[138:139], v[218:219], v[80:83]// 000000008114: D3D70050 0D43B58A
	v_mfma_i32_16x16x32_i8 v[80:83], a[140:141], v[220:221], v[80:83]// 00000000811C: D3D70050 0D43B98C
	ds_read_b128 v[180:183], v2 offset:64                      // 000000008124: D9FE0040 B4000002
	v_mfma_i32_16x16x32_i8 v[80:83], a[142:143], v[222:223], v[80:83]// 00000000812C: D3D70050 0D43BD8E
	v_mfma_i32_16x16x32_i8 v[84:87], a[128:129], v[224:225], v[84:87]// 000000008134: D3D70054 0D53C180
	buffer_load_dwordx4 a[40:43], v36, s[24:27], 0 offen offset:2048// 00000000813C: E05C1800 80862824
	v_mfma_i32_16x16x32_i8 v[84:87], a[130:131], v[226:227], v[84:87]// 000000008144: D3D70054 0D53C582
	v_mfma_i32_16x16x32_i8 v[84:87], a[132:133], v[228:229], v[84:87]// 00000000814C: D3D70054 0D53C984
	ds_read_b128 v[184:187], v2 offset:128                     // 000000008154: D9FE0080 B8000002
	v_mfma_i32_16x16x32_i8 v[84:87], a[134:135], v[230:231], v[84:87]// 00000000815C: D3D70054 0D53CD86
	v_mfma_i32_16x16x32_i8 v[84:87], a[136:137], v[232:233], v[84:87]// 000000008164: D3D70054 0D53D188
	buffer_load_dwordx4 a[44:47], v36, s[24:27], 0 offen offset:3072// 00000000816C: E05C1C00 80862C24
	v_mfma_i32_16x16x32_i8 v[84:87], a[138:139], v[234:235], v[84:87]// 000000008174: D3D70054 0D53D58A
	v_mfma_i32_16x16x32_i8 v[84:87], a[140:141], v[236:237], v[84:87]// 00000000817C: D3D70054 0D53D98C
	ds_read_b128 v[188:191], v2 offset:192                     // 000000008184: D9FE00C0 BC000002
	v_mfma_i32_16x16x32_i8 v[84:87], a[142:143], v[238:239], v[84:87]// 00000000818C: D3D70054 0D53DD8E
	s_waitcnt vmcnt(20)                                        // 000000008194: BF8C4F74
	v_mfma_i32_16x16x32_i8 v[88:91], a[144:145], v[208:209], v[88:91]// 000000008198: D3D70058 0D63A190
	buffer_load_dwordx4 a[48:51], v37, s[24:27], 0 offen       // 0000000081A0: E05C1000 80863025
	v_mfma_i32_16x16x32_i8 v[88:91], a[146:147], v[210:211], v[88:91]// 0000000081A8: D3D70058 0D63A592
	v_mfma_i32_16x16x32_i8 v[88:91], a[148:149], v[212:213], v[88:91]// 0000000081B0: D3D70058 0D63A994
	ds_read_b128 v[192:195], v2 offset:1024                    // 0000000081B8: D9FE0400 C0000002
	v_mfma_i32_16x16x32_i8 v[88:91], a[150:151], v[214:215], v[88:91]// 0000000081C0: D3D70058 0D63AD96
	v_mfma_i32_16x16x32_i8 v[88:91], a[152:153], v[216:217], v[88:91]// 0000000081C8: D3D70058 0D63B198
	buffer_load_dwordx4 a[52:55], v37, s[24:27], 0 offen offset:1024// 0000000081D0: E05C1400 80863425
	v_mfma_i32_16x16x32_i8 v[88:91], a[154:155], v[218:219], v[88:91]// 0000000081D8: D3D70058 0D63B59A
	v_mfma_i32_16x16x32_i8 v[88:91], a[156:157], v[220:221], v[88:91]// 0000000081E0: D3D70058 0D63B99C
	ds_read_b128 v[196:199], v2 offset:1088                    // 0000000081E8: D9FE0440 C4000002
	v_mfma_i32_16x16x32_i8 v[88:91], a[158:159], v[222:223], v[88:91]// 0000000081F0: D3D70058 0D63BD9E
	v_mfma_i32_16x16x32_i8 v[92:95], a[144:145], v[224:225], v[92:95]// 0000000081F8: D3D7005C 0D73C190
	buffer_load_dwordx4 a[56:59], v37, s[24:27], 0 offen offset:2048// 000000008200: E05C1800 80863825
	v_mfma_i32_16x16x32_i8 v[92:95], a[146:147], v[226:227], v[92:95]// 000000008208: D3D7005C 0D73C592
	v_mfma_i32_16x16x32_i8 v[92:95], a[148:149], v[228:229], v[92:95]// 000000008210: D3D7005C 0D73C994
	ds_read_b128 v[200:203], v2 offset:1152                    // 000000008218: D9FE0480 C8000002
	v_mfma_i32_16x16x32_i8 v[92:95], a[150:151], v[230:231], v[92:95]// 000000008220: D3D7005C 0D73CD96
	v_mfma_i32_16x16x32_i8 v[92:95], a[152:153], v[232:233], v[92:95]// 000000008228: D3D7005C 0D73D198
	buffer_load_dwordx4 a[60:63], v37, s[24:27], 0 offen offset:3072// 000000008230: E05C1C00 80863C25
	v_mfma_i32_16x16x32_i8 v[92:95], a[154:155], v[234:235], v[92:95]// 000000008238: D3D7005C 0D73D59A
	v_mfma_i32_16x16x32_i8 v[92:95], a[156:157], v[236:237], v[92:95]// 000000008240: D3D7005C 0D73D99C
	ds_read_b128 v[204:207], v2 offset:1216                    // 000000008248: D9FE04C0 CC000002
	v_mfma_i32_16x16x32_i8 v[92:95], a[158:159], v[238:239], v[92:95]// 000000008250: D3D7005C 0D73DD9E
	s_waitcnt vmcnt(20)                                        // 000000008258: BF8C4F74
	v_mfma_i32_16x16x32_i8 v[96:99], a[160:161], v[208:209], v[96:99]// 00000000825C: D3D70060 0D83A1A0
	buffer_load_dwordx4 a[64:67], v38, s[24:27], 0 offen       // 000000008264: E05C1000 80864026
	v_mfma_i32_16x16x32_i8 v[96:99], a[162:163], v[210:211], v[96:99]// 00000000826C: D3D70060 0D83A5A2
	v_mfma_i32_16x16x32_i8 v[96:99], a[164:165], v[212:213], v[96:99]// 000000008274: D3D70060 0D83A9A4
	v_mfma_i32_16x16x32_i8 v[96:99], a[166:167], v[214:215], v[96:99]// 00000000827C: D3D70060 0D83ADA6
	v_mfma_i32_16x16x32_i8 v[96:99], a[168:169], v[216:217], v[96:99]// 000000008284: D3D70060 0D83B1A8
	buffer_load_dwordx4 a[68:71], v38, s[24:27], 0 offen offset:1024// 00000000828C: E05C1400 80864426
	v_mfma_i32_16x16x32_i8 v[96:99], a[170:171], v[218:219], v[96:99]// 000000008294: D3D70060 0D83B5AA
	v_mfma_i32_16x16x32_i8 v[96:99], a[172:173], v[220:221], v[96:99]// 00000000829C: D3D70060 0D83B9AC
	v_mfma_i32_16x16x32_i8 v[96:99], a[174:175], v[222:223], v[96:99]// 0000000082A4: D3D70060 0D83BDAE
	v_mfma_i32_16x16x32_i8 v[100:103], a[160:161], v[224:225], v[100:103]// 0000000082AC: D3D70064 0D93C1A0
	buffer_load_dwordx4 a[72:75], v38, s[24:27], 0 offen offset:2048// 0000000082B4: E05C1800 80864826
	v_mfma_i32_16x16x32_i8 v[100:103], a[162:163], v[226:227], v[100:103]// 0000000082BC: D3D70064 0D93C5A2
	v_mfma_i32_16x16x32_i8 v[100:103], a[164:165], v[228:229], v[100:103]// 0000000082C4: D3D70064 0D93C9A4
	v_mfma_i32_16x16x32_i8 v[100:103], a[166:167], v[230:231], v[100:103]// 0000000082CC: D3D70064 0D93CDA6
	v_mfma_i32_16x16x32_i8 v[100:103], a[168:169], v[232:233], v[100:103]// 0000000082D4: D3D70064 0D93D1A8
	buffer_load_dwordx4 a[76:79], v38, s[24:27], 0 offen offset:3072// 0000000082DC: E05C1C00 80864C26
	v_mfma_i32_16x16x32_i8 v[100:103], a[170:171], v[234:235], v[100:103]// 0000000082E4: D3D70064 0D93D5AA
	v_mfma_i32_16x16x32_i8 v[100:103], a[172:173], v[236:237], v[100:103]// 0000000082EC: D3D70064 0D93D9AC
	v_mfma_i32_16x16x32_i8 v[100:103], a[174:175], v[238:239], v[100:103]// 0000000082F4: D3D70064 0D93DDAE
	s_waitcnt vmcnt(20)                                        // 0000000082FC: BF8C4F74
	v_mfma_i32_16x16x32_i8 v[104:107], a[176:177], v[208:209], v[104:107]// 000000008300: D3D70068 0DA3A1B0
	buffer_load_dwordx4 a[80:83], v39, s[24:27], 0 offen       // 000000008308: E05C1000 80865027
	v_mfma_i32_16x16x32_i8 v[104:107], a[178:179], v[210:211], v[104:107]// 000000008310: D3D70068 0DA3A5B2
	v_mfma_i32_16x16x32_i8 v[104:107], a[180:181], v[212:213], v[104:107]// 000000008318: D3D70068 0DA3A9B4
	v_mfma_i32_16x16x32_i8 v[104:107], a[182:183], v[214:215], v[104:107]// 000000008320: D3D70068 0DA3ADB6
	v_mfma_i32_16x16x32_i8 v[104:107], a[184:185], v[216:217], v[104:107]// 000000008328: D3D70068 0DA3B1B8
	buffer_load_dwordx4 a[84:87], v39, s[24:27], 0 offen offset:1024// 000000008330: E05C1400 80865427
	v_mfma_i32_16x16x32_i8 v[104:107], a[186:187], v[218:219], v[104:107]// 000000008338: D3D70068 0DA3B5BA
	v_mfma_i32_16x16x32_i8 v[104:107], a[188:189], v[220:221], v[104:107]// 000000008340: D3D70068 0DA3B9BC
	v_mfma_i32_16x16x32_i8 v[104:107], a[190:191], v[222:223], v[104:107]// 000000008348: D3D70068 0DA3BDBE
	v_mfma_i32_16x16x32_i8 v[108:111], a[176:177], v[224:225], v[108:111]// 000000008350: D3D7006C 0DB3C1B0
	buffer_load_dwordx4 a[88:91], v39, s[24:27], 0 offen offset:2048// 000000008358: E05C1800 80865827
	v_mfma_i32_16x16x32_i8 v[108:111], a[178:179], v[226:227], v[108:111]// 000000008360: D3D7006C 0DB3C5B2
	v_mfma_i32_16x16x32_i8 v[108:111], a[180:181], v[228:229], v[108:111]// 000000008368: D3D7006C 0DB3C9B4
	v_mfma_i32_16x16x32_i8 v[108:111], a[182:183], v[230:231], v[108:111]// 000000008370: D3D7006C 0DB3CDB6
	v_mfma_i32_16x16x32_i8 v[108:111], a[184:185], v[232:233], v[108:111]// 000000008378: D3D7006C 0DB3D1B8
	buffer_load_dwordx4 a[92:95], v39, s[24:27], 0 offen offset:3072// 000000008380: E05C1C00 80865C27
	v_mfma_i32_16x16x32_i8 v[108:111], a[186:187], v[234:235], v[108:111]// 000000008388: D3D7006C 0DB3D5BA
	v_mfma_i32_16x16x32_i8 v[108:111], a[188:189], v[236:237], v[108:111]// 000000008390: D3D7006C 0DB3D9BC
	v_mfma_i32_16x16x32_i8 v[108:111], a[190:191], v[238:239], v[108:111]// 000000008398: D3D7006C 0DB3DDBE
	s_add_u32 s60, 0x200, s80                                  // 0000000083A0: 803C50FF 00000200
	s_cmp_lt_u32 s60, s81                                      // 0000000083A8: BF0A513C
	s_cselect_b32 s57, s57, 0                                  // 0000000083AC: 85398039
	s_add_u32 s60, 0x200, s80                                  // 0000000083B0: 803C50FF 00000200
	s_cmp_lt_u32 s60, s81                                      // 0000000083B8: BF0A513C
	s_cselect_b32 s58, s58, 0                                  // 0000000083BC: 853A803A
	s_add_u32 s20, s57, s20                                    // 0000000083C0: 80141439
	s_addc_u32 s21, 0, s21                                     // 0000000083C4: 82151580
	s_add_u32 s24, s58, s24                                    // 0000000083C8: 8018183A
	s_addc_u32 s25, 0, s25                                     // 0000000083CC: 82191980
	s_add_u32 s92, s90, s92                                    // 0000000083D0: 805C5C5A
	s_addc_u32 s93, 0, s93                                     // 0000000083D4: 825D5D80
	s_addk_i32 s80, 0x100                                      // 0000000083D8: B7500100
	s_cmp_lt_i32 s80, s81                                      // 0000000083DC: BF045150
	s_cbranch_scc0 label_157A                                  // 0000000083E0: BF840001
	s_branch label_1121                                        // 0000000083E4: BF82FBA7

00000000000083e8 <label_157A>:
	s_mov_b32 s36, -1                                          // 0000000083E8: BEA400C1
	s_mov_b32 s37, -1                                          // 0000000083EC: BEA500C1
	s_mov_b64 s[60:61], 0                                      // 0000000083F0: BEBC0180
	s_cmp_lt_u32 s82, s66                                      // 0000000083F4: BF0A4252
	s_cselect_b64 s[20:21], s[36:37], s[60:61]                 // 0000000083F8: 85943C24
	s_cmp_lt_u32 s83, s66                                      // 0000000083FC: BF0A4253
	s_cselect_b64 s[22:23], s[36:37], s[60:61]                 // 000000008400: 85963C24
	s_cmp_lt_u32 s84, s66                                      // 000000008404: BF0A4254
	s_cselect_b64 s[24:25], s[36:37], s[60:61]                 // 000000008408: 85983C24
	s_cmp_lt_u32 s85, s66                                      // 00000000840C: BF0A4255
	s_cselect_b64 s[26:27], s[36:37], s[60:61]                 // 000000008410: 859A3C24
	s_cmp_lt_u32 s86, s66                                      // 000000008414: BF0A4256
	s_cselect_b64 s[28:29], s[36:37], s[60:61]                 // 000000008418: 859C3C24
	s_cmp_lt_u32 s87, s66                                      // 00000000841C: BF0A4257
	s_cselect_b64 s[30:31], s[36:37], s[60:61]                 // 000000008420: 859E3C24
	s_cmp_lt_u32 s88, s66                                      // 000000008424: BF0A4258
	s_cselect_b64 s[32:33], s[36:37], s[60:61]                 // 000000008428: 85A03C24
	s_cmp_lt_u32 s89, s66                                      // 00000000842C: BF0A4259
	s_cselect_b64 s[34:35], s[36:37], s[60:61]                 // 000000008430: 85A23C24
	v_cvt_f32_i32_e32 v128, v128                               // 000000008434: 7F000B80
	v_cvt_f32_i32_e32 v129, v129                               // 000000008438: 7F020B81
	v_cvt_f32_i32_e32 v130, v130                               // 00000000843C: 7F040B82
	v_cvt_f32_i32_e32 v131, v131                               // 000000008440: 7F060B83
	v_mul_f32_e32 v128, v14, v128                              // 000000008444: 0B01010E
	v_mul_f32_e32 v129, v14, v129                              // 000000008448: 0B03030E
	v_mul_f32_e32 v130, v14, v130                              // 00000000844C: 0B05050E
	v_mul_f32_e32 v131, v14, v131                              // 000000008450: 0B07070E
	v_mul_f32_dpp v128, v16, v128 row_newbcast:0 row_mask:0xf bank_mask:0xf// 000000008454: 0B0100FA FF015010
	v_mul_f32_dpp v129, v16, v129 row_newbcast:1 row_mask:0xf bank_mask:0xf// 00000000845C: 0B0302FA FF015110
	v_mul_f32_dpp v130, v16, v130 row_newbcast:2 row_mask:0xf bank_mask:0xf// 000000008464: 0B0504FA FF015210
	v_mul_f32_dpp v131, v16, v131 row_newbcast:3 row_mask:0xf bank_mask:0xf// 00000000846C: 0B0706FA FF015310
	v_cvt_f32_i32_e32 v132, v132                               // 000000008474: 7F080B84
	v_cvt_f32_i32_e32 v133, v133                               // 000000008478: 7F0A0B85
	v_cvt_f32_i32_e32 v134, v134                               // 00000000847C: 7F0C0B86
	v_cvt_f32_i32_e32 v135, v135                               // 000000008480: 7F0E0B87
	v_mul_f32_e32 v132, v15, v132                              // 000000008484: 0B09090F
	v_mul_f32_e32 v133, v15, v133                              // 000000008488: 0B0B0B0F
	v_mul_f32_e32 v134, v15, v134                              // 00000000848C: 0B0D0D0F
	v_mul_f32_e32 v135, v15, v135                              // 000000008490: 0B0F0F0F
	v_mul_f32_dpp v132, v16, v132 row_newbcast:0 row_mask:0xf bank_mask:0xf// 000000008494: 0B0908FA FF015010
	v_mul_f32_dpp v133, v16, v133 row_newbcast:1 row_mask:0xf bank_mask:0xf// 00000000849C: 0B0B0AFA FF015110
	v_mul_f32_dpp v134, v16, v134 row_newbcast:2 row_mask:0xf bank_mask:0xf// 0000000084A4: 0B0D0CFA FF015210
	v_mul_f32_dpp v135, v16, v135 row_newbcast:3 row_mask:0xf bank_mask:0xf// 0000000084AC: 0B0F0EFA FF015310
	v_cvt_f32_i32_e32 v136, v136                               // 0000000084B4: 7F100B88
	v_cvt_f32_i32_e32 v137, v137                               // 0000000084B8: 7F120B89
	v_cvt_f32_i32_e32 v138, v138                               // 0000000084BC: 7F140B8A
	v_cvt_f32_i32_e32 v139, v139                               // 0000000084C0: 7F160B8B
	v_mul_f32_e32 v136, v14, v136                              // 0000000084C4: 0B11110E
	v_mul_f32_e32 v137, v14, v137                              // 0000000084C8: 0B13130E
	v_mul_f32_e32 v138, v14, v138                              // 0000000084CC: 0B15150E
	v_mul_f32_e32 v139, v14, v139                              // 0000000084D0: 0B17170E
	v_mul_f32_dpp v136, v16, v136 row_newbcast:4 row_mask:0xf bank_mask:0xf// 0000000084D4: 0B1110FA FF015410
	v_mul_f32_dpp v137, v16, v137 row_newbcast:5 row_mask:0xf bank_mask:0xf// 0000000084DC: 0B1312FA FF015510
	v_mul_f32_dpp v138, v16, v138 row_newbcast:6 row_mask:0xf bank_mask:0xf// 0000000084E4: 0B1514FA FF015610
	v_mul_f32_dpp v139, v16, v139 row_newbcast:7 row_mask:0xf bank_mask:0xf// 0000000084EC: 0B1716FA FF015710
	v_cvt_f32_i32_e32 v140, v140                               // 0000000084F4: 7F180B8C
	v_cvt_f32_i32_e32 v141, v141                               // 0000000084F8: 7F1A0B8D
	v_cvt_f32_i32_e32 v142, v142                               // 0000000084FC: 7F1C0B8E
	v_cvt_f32_i32_e32 v143, v143                               // 000000008500: 7F1E0B8F
	v_mul_f32_e32 v140, v15, v140                              // 000000008504: 0B19190F
	v_mul_f32_e32 v141, v15, v141                              // 000000008508: 0B1B1B0F
	v_mul_f32_e32 v142, v15, v142                              // 00000000850C: 0B1D1D0F
	v_mul_f32_e32 v143, v15, v143                              // 000000008510: 0B1F1F0F
	v_mul_f32_dpp v140, v16, v140 row_newbcast:4 row_mask:0xf bank_mask:0xf// 000000008514: 0B1918FA FF015410
	v_mul_f32_dpp v141, v16, v141 row_newbcast:5 row_mask:0xf bank_mask:0xf// 00000000851C: 0B1B1AFA FF015510
	v_mul_f32_dpp v142, v16, v142 row_newbcast:6 row_mask:0xf bank_mask:0xf// 000000008524: 0B1D1CFA FF015610
	v_mul_f32_dpp v143, v16, v143 row_newbcast:7 row_mask:0xf bank_mask:0xf// 00000000852C: 0B1F1EFA FF015710
	v_cvt_f32_i32_e32 v144, v144                               // 000000008534: 7F200B90
	v_cvt_f32_i32_e32 v145, v145                               // 000000008538: 7F220B91
	v_cvt_f32_i32_e32 v146, v146                               // 00000000853C: 7F240B92
	v_cvt_f32_i32_e32 v147, v147                               // 000000008540: 7F260B93
	v_mul_f32_e32 v144, v14, v144                              // 000000008544: 0B21210E
	v_mul_f32_e32 v145, v14, v145                              // 000000008548: 0B23230E
	v_mul_f32_e32 v146, v14, v146                              // 00000000854C: 0B25250E
	v_mul_f32_e32 v147, v14, v147                              // 000000008550: 0B27270E
	v_mul_f32_dpp v144, v16, v144 row_newbcast:8 row_mask:0xf bank_mask:0xf// 000000008554: 0B2120FA FF015810
	v_mul_f32_dpp v145, v16, v145 row_newbcast:9 row_mask:0xf bank_mask:0xf// 00000000855C: 0B2322FA FF015910
	v_mul_f32_dpp v146, v16, v146 row_newbcast:10 row_mask:0xf bank_mask:0xf// 000000008564: 0B2524FA FF015A10
	v_mul_f32_dpp v147, v16, v147 row_newbcast:11 row_mask:0xf bank_mask:0xf// 00000000856C: 0B2726FA FF015B10
	v_cvt_f32_i32_e32 v148, v148                               // 000000008574: 7F280B94
	v_cvt_f32_i32_e32 v149, v149                               // 000000008578: 7F2A0B95
	v_cvt_f32_i32_e32 v150, v150                               // 00000000857C: 7F2C0B96
	v_cvt_f32_i32_e32 v151, v151                               // 000000008580: 7F2E0B97
	v_mul_f32_e32 v148, v15, v148                              // 000000008584: 0B29290F
	v_mul_f32_e32 v149, v15, v149                              // 000000008588: 0B2B2B0F
	v_mul_f32_e32 v150, v15, v150                              // 00000000858C: 0B2D2D0F
	v_mul_f32_e32 v151, v15, v151                              // 000000008590: 0B2F2F0F
	v_mul_f32_dpp v148, v16, v148 row_newbcast:8 row_mask:0xf bank_mask:0xf// 000000008594: 0B2928FA FF015810
	v_mul_f32_dpp v149, v16, v149 row_newbcast:9 row_mask:0xf bank_mask:0xf// 00000000859C: 0B2B2AFA FF015910
	v_mul_f32_dpp v150, v16, v150 row_newbcast:10 row_mask:0xf bank_mask:0xf// 0000000085A4: 0B2D2CFA FF015A10
	v_mul_f32_dpp v151, v16, v151 row_newbcast:11 row_mask:0xf bank_mask:0xf// 0000000085AC: 0B2F2EFA FF015B10
	v_cvt_f32_i32_e32 v152, v152                               // 0000000085B4: 7F300B98
	v_cvt_f32_i32_e32 v153, v153                               // 0000000085B8: 7F320B99
	v_cvt_f32_i32_e32 v154, v154                               // 0000000085BC: 7F340B9A
	v_cvt_f32_i32_e32 v155, v155                               // 0000000085C0: 7F360B9B
	v_mul_f32_e32 v152, v14, v152                              // 0000000085C4: 0B31310E
	v_mul_f32_e32 v153, v14, v153                              // 0000000085C8: 0B33330E
	v_mul_f32_e32 v154, v14, v154                              // 0000000085CC: 0B35350E
	v_mul_f32_e32 v155, v14, v155                              // 0000000085D0: 0B37370E
	v_mul_f32_dpp v152, v16, v152 row_newbcast:12 row_mask:0xf bank_mask:0xf// 0000000085D4: 0B3130FA FF015C10
	v_mul_f32_dpp v153, v16, v153 row_newbcast:13 row_mask:0xf bank_mask:0xf// 0000000085DC: 0B3332FA FF015D10
	v_mul_f32_dpp v154, v16, v154 row_newbcast:14 row_mask:0xf bank_mask:0xf// 0000000085E4: 0B3534FA FF015E10
	v_mul_f32_dpp v155, v16, v155 row_newbcast:15 row_mask:0xf bank_mask:0xf// 0000000085EC: 0B3736FA FF015F10
	v_cvt_f32_i32_e32 v156, v156                               // 0000000085F4: 7F380B9C
	v_cvt_f32_i32_e32 v157, v157                               // 0000000085F8: 7F3A0B9D
	v_cvt_f32_i32_e32 v158, v158                               // 0000000085FC: 7F3C0B9E
	v_cvt_f32_i32_e32 v159, v159                               // 000000008600: 7F3E0B9F
	v_mul_f32_e32 v156, v15, v156                              // 000000008604: 0B39390F
	v_mul_f32_e32 v157, v15, v157                              // 000000008608: 0B3B3B0F
	v_mul_f32_e32 v158, v15, v158                              // 00000000860C: 0B3D3D0F
	v_mul_f32_e32 v159, v15, v159                              // 000000008610: 0B3F3F0F
	v_mul_f32_dpp v156, v16, v156 row_newbcast:12 row_mask:0xf bank_mask:0xf// 000000008614: 0B3938FA FF015C10
	v_mul_f32_dpp v157, v16, v157 row_newbcast:13 row_mask:0xf bank_mask:0xf// 00000000861C: 0B3B3AFA FF015D10
	v_mul_f32_dpp v158, v16, v158 row_newbcast:14 row_mask:0xf bank_mask:0xf// 000000008624: 0B3D3CFA FF015E10
	v_mul_f32_dpp v159, v16, v159 row_newbcast:15 row_mask:0xf bank_mask:0xf// 00000000862C: 0B3F3EFA FF015F10
	v_cvt_f32_i32_e32 v160, v160                               // 000000008634: 7F400BA0
	v_cvt_f32_i32_e32 v161, v161                               // 000000008638: 7F420BA1
	v_cvt_f32_i32_e32 v162, v162                               // 00000000863C: 7F440BA2
	v_cvt_f32_i32_e32 v163, v163                               // 000000008640: 7F460BA3
	v_mul_f32_e32 v160, v14, v160                              // 000000008644: 0B41410E
	v_mul_f32_e32 v161, v14, v161                              // 000000008648: 0B43430E
	v_mul_f32_e32 v162, v14, v162                              // 00000000864C: 0B45450E
	v_mul_f32_e32 v163, v14, v163                              // 000000008650: 0B47470E
	v_mul_f32_dpp v160, v17, v160 row_newbcast:0 row_mask:0xf bank_mask:0xf// 000000008654: 0B4140FA FF015011
	v_mul_f32_dpp v161, v17, v161 row_newbcast:1 row_mask:0xf bank_mask:0xf// 00000000865C: 0B4342FA FF015111
	v_mul_f32_dpp v162, v17, v162 row_newbcast:2 row_mask:0xf bank_mask:0xf// 000000008664: 0B4544FA FF015211
	v_mul_f32_dpp v163, v17, v163 row_newbcast:3 row_mask:0xf bank_mask:0xf// 00000000866C: 0B4746FA FF015311
	v_cvt_f32_i32_e32 v164, v164                               // 000000008674: 7F480BA4
	v_cvt_f32_i32_e32 v165, v165                               // 000000008678: 7F4A0BA5
	v_cvt_f32_i32_e32 v166, v166                               // 00000000867C: 7F4C0BA6
	v_cvt_f32_i32_e32 v167, v167                               // 000000008680: 7F4E0BA7
	v_mul_f32_e32 v164, v15, v164                              // 000000008684: 0B49490F
	v_mul_f32_e32 v165, v15, v165                              // 000000008688: 0B4B4B0F
	v_mul_f32_e32 v166, v15, v166                              // 00000000868C: 0B4D4D0F
	v_mul_f32_e32 v167, v15, v167                              // 000000008690: 0B4F4F0F
	v_mul_f32_dpp v164, v17, v164 row_newbcast:0 row_mask:0xf bank_mask:0xf// 000000008694: 0B4948FA FF015011
	v_mul_f32_dpp v165, v17, v165 row_newbcast:1 row_mask:0xf bank_mask:0xf// 00000000869C: 0B4B4AFA FF015111
	v_mul_f32_dpp v166, v17, v166 row_newbcast:2 row_mask:0xf bank_mask:0xf// 0000000086A4: 0B4D4CFA FF015211
	v_mul_f32_dpp v167, v17, v167 row_newbcast:3 row_mask:0xf bank_mask:0xf// 0000000086AC: 0B4F4EFA FF015311
	v_cvt_f32_i32_e32 v168, v168                               // 0000000086B4: 7F500BA8
	v_cvt_f32_i32_e32 v169, v169                               // 0000000086B8: 7F520BA9
	v_cvt_f32_i32_e32 v170, v170                               // 0000000086BC: 7F540BAA
	v_cvt_f32_i32_e32 v171, v171                               // 0000000086C0: 7F560BAB
	v_mul_f32_e32 v168, v14, v168                              // 0000000086C4: 0B51510E
	v_mul_f32_e32 v169, v14, v169                              // 0000000086C8: 0B53530E
	v_mul_f32_e32 v170, v14, v170                              // 0000000086CC: 0B55550E
	v_mul_f32_e32 v171, v14, v171                              // 0000000086D0: 0B57570E
	v_mul_f32_dpp v168, v17, v168 row_newbcast:4 row_mask:0xf bank_mask:0xf// 0000000086D4: 0B5150FA FF015411
	v_mul_f32_dpp v169, v17, v169 row_newbcast:5 row_mask:0xf bank_mask:0xf// 0000000086DC: 0B5352FA FF015511
	v_mul_f32_dpp v170, v17, v170 row_newbcast:6 row_mask:0xf bank_mask:0xf// 0000000086E4: 0B5554FA FF015611
	v_mul_f32_dpp v171, v17, v171 row_newbcast:7 row_mask:0xf bank_mask:0xf// 0000000086EC: 0B5756FA FF015711
	v_cvt_f32_i32_e32 v172, v172                               // 0000000086F4: 7F580BAC
	v_cvt_f32_i32_e32 v173, v173                               // 0000000086F8: 7F5A0BAD
	v_cvt_f32_i32_e32 v174, v174                               // 0000000086FC: 7F5C0BAE
	v_cvt_f32_i32_e32 v175, v175                               // 000000008700: 7F5E0BAF
	v_mul_f32_e32 v172, v15, v172                              // 000000008704: 0B59590F
	v_mul_f32_e32 v173, v15, v173                              // 000000008708: 0B5B5B0F
	v_mul_f32_e32 v174, v15, v174                              // 00000000870C: 0B5D5D0F
	v_mul_f32_e32 v175, v15, v175                              // 000000008710: 0B5F5F0F
	v_mul_f32_dpp v172, v17, v172 row_newbcast:4 row_mask:0xf bank_mask:0xf// 000000008714: 0B5958FA FF015411
	v_mul_f32_dpp v173, v17, v173 row_newbcast:5 row_mask:0xf bank_mask:0xf// 00000000871C: 0B5B5AFA FF015511
	v_mul_f32_dpp v174, v17, v174 row_newbcast:6 row_mask:0xf bank_mask:0xf// 000000008724: 0B5D5CFA FF015611
	v_mul_f32_dpp v175, v17, v175 row_newbcast:7 row_mask:0xf bank_mask:0xf// 00000000872C: 0B5F5EFA FF015711
	v_cvt_f32_i32_e32 v64, v64                                 // 000000008734: 7E800B40
	v_cvt_f32_i32_e32 v65, v65                                 // 000000008738: 7E820B41
	v_cvt_f32_i32_e32 v66, v66                                 // 00000000873C: 7E840B42
	v_cvt_f32_i32_e32 v67, v67                                 // 000000008740: 7E860B43
	v_mul_f32_e32 v64, v14, v64                                // 000000008744: 0A80810E
	v_mul_f32_e32 v65, v14, v65                                // 000000008748: 0A82830E
	v_mul_f32_e32 v66, v14, v66                                // 00000000874C: 0A84850E
	v_mul_f32_e32 v67, v14, v67                                // 000000008750: 0A86870E
	v_mul_f32_dpp v64, v48, v64 row_newbcast:0 row_mask:0xf bank_mask:0xf// 000000008754: 0A8080FA FF015030
	v_mul_f32_dpp v65, v48, v65 row_newbcast:1 row_mask:0xf bank_mask:0xf// 00000000875C: 0A8282FA FF015130
	v_mul_f32_dpp v66, v48, v66 row_newbcast:2 row_mask:0xf bank_mask:0xf// 000000008764: 0A8484FA FF015230
	v_mul_f32_dpp v67, v48, v67 row_newbcast:3 row_mask:0xf bank_mask:0xf// 00000000876C: 0A8686FA FF015330
	v_cvt_f32_i32_e32 v68, v68                                 // 000000008774: 7E880B44
	v_cvt_f32_i32_e32 v69, v69                                 // 000000008778: 7E8A0B45
	v_cvt_f32_i32_e32 v70, v70                                 // 00000000877C: 7E8C0B46
	v_cvt_f32_i32_e32 v71, v71                                 // 000000008780: 7E8E0B47
	v_mul_f32_e32 v68, v15, v68                                // 000000008784: 0A88890F
	v_mul_f32_e32 v69, v15, v69                                // 000000008788: 0A8A8B0F
	v_mul_f32_e32 v70, v15, v70                                // 00000000878C: 0A8C8D0F
	v_mul_f32_e32 v71, v15, v71                                // 000000008790: 0A8E8F0F
	v_mul_f32_dpp v68, v48, v68 row_newbcast:0 row_mask:0xf bank_mask:0xf// 000000008794: 0A8888FA FF015030
	v_mul_f32_dpp v69, v48, v69 row_newbcast:1 row_mask:0xf bank_mask:0xf// 00000000879C: 0A8A8AFA FF015130
	v_mul_f32_dpp v70, v48, v70 row_newbcast:2 row_mask:0xf bank_mask:0xf// 0000000087A4: 0A8C8CFA FF015230
	v_mul_f32_dpp v71, v48, v71 row_newbcast:3 row_mask:0xf bank_mask:0xf// 0000000087AC: 0A8E8EFA FF015330
	v_cvt_f32_i32_e32 v72, v72                                 // 0000000087B4: 7E900B48
	v_cvt_f32_i32_e32 v73, v73                                 // 0000000087B8: 7E920B49
	v_cvt_f32_i32_e32 v74, v74                                 // 0000000087BC: 7E940B4A
	v_cvt_f32_i32_e32 v75, v75                                 // 0000000087C0: 7E960B4B
	v_mul_f32_e32 v72, v14, v72                                // 0000000087C4: 0A90910E
	v_mul_f32_e32 v73, v14, v73                                // 0000000087C8: 0A92930E
	v_mul_f32_e32 v74, v14, v74                                // 0000000087CC: 0A94950E
	v_mul_f32_e32 v75, v14, v75                                // 0000000087D0: 0A96970E
	v_mul_f32_dpp v72, v48, v72 row_newbcast:4 row_mask:0xf bank_mask:0xf// 0000000087D4: 0A9090FA FF015430
	v_mul_f32_dpp v73, v48, v73 row_newbcast:5 row_mask:0xf bank_mask:0xf// 0000000087DC: 0A9292FA FF015530
	v_mul_f32_dpp v74, v48, v74 row_newbcast:6 row_mask:0xf bank_mask:0xf// 0000000087E4: 0A9494FA FF015630
	v_mul_f32_dpp v75, v48, v75 row_newbcast:7 row_mask:0xf bank_mask:0xf// 0000000087EC: 0A9696FA FF015730
	v_cvt_f32_i32_e32 v76, v76                                 // 0000000087F4: 7E980B4C
	v_cvt_f32_i32_e32 v77, v77                                 // 0000000087F8: 7E9A0B4D
	v_cvt_f32_i32_e32 v78, v78                                 // 0000000087FC: 7E9C0B4E
	v_cvt_f32_i32_e32 v79, v79                                 // 000000008800: 7E9E0B4F
	v_mul_f32_e32 v76, v15, v76                                // 000000008804: 0A98990F
	v_mul_f32_e32 v77, v15, v77                                // 000000008808: 0A9A9B0F
	v_mul_f32_e32 v78, v15, v78                                // 00000000880C: 0A9C9D0F
	v_mul_f32_e32 v79, v15, v79                                // 000000008810: 0A9E9F0F
	v_mul_f32_dpp v76, v48, v76 row_newbcast:4 row_mask:0xf bank_mask:0xf// 000000008814: 0A9898FA FF015430
	v_mul_f32_dpp v77, v48, v77 row_newbcast:5 row_mask:0xf bank_mask:0xf// 00000000881C: 0A9A9AFA FF015530
	v_mul_f32_dpp v78, v48, v78 row_newbcast:6 row_mask:0xf bank_mask:0xf// 000000008824: 0A9C9CFA FF015630
	v_mul_f32_dpp v79, v48, v79 row_newbcast:7 row_mask:0xf bank_mask:0xf// 00000000882C: 0A9E9EFA FF015730
	v_cvt_f32_i32_e32 v80, v80                                 // 000000008834: 7EA00B50
	v_cvt_f32_i32_e32 v81, v81                                 // 000000008838: 7EA20B51
	v_cvt_f32_i32_e32 v82, v82                                 // 00000000883C: 7EA40B52
	v_cvt_f32_i32_e32 v83, v83                                 // 000000008840: 7EA60B53
	v_mul_f32_e32 v80, v14, v80                                // 000000008844: 0AA0A10E
	v_mul_f32_e32 v81, v14, v81                                // 000000008848: 0AA2A30E
	v_mul_f32_e32 v82, v14, v82                                // 00000000884C: 0AA4A50E
	v_mul_f32_e32 v83, v14, v83                                // 000000008850: 0AA6A70E
	v_mul_f32_dpp v80, v48, v80 row_newbcast:8 row_mask:0xf bank_mask:0xf// 000000008854: 0AA0A0FA FF015830
	v_mul_f32_dpp v81, v48, v81 row_newbcast:9 row_mask:0xf bank_mask:0xf// 00000000885C: 0AA2A2FA FF015930
	v_mul_f32_dpp v82, v48, v82 row_newbcast:10 row_mask:0xf bank_mask:0xf// 000000008864: 0AA4A4FA FF015A30
	v_mul_f32_dpp v83, v48, v83 row_newbcast:11 row_mask:0xf bank_mask:0xf// 00000000886C: 0AA6A6FA FF015B30
	v_cvt_f32_i32_e32 v84, v84                                 // 000000008874: 7EA80B54
	v_cvt_f32_i32_e32 v85, v85                                 // 000000008878: 7EAA0B55
	v_cvt_f32_i32_e32 v86, v86                                 // 00000000887C: 7EAC0B56
	v_cvt_f32_i32_e32 v87, v87                                 // 000000008880: 7EAE0B57
	v_mul_f32_e32 v84, v15, v84                                // 000000008884: 0AA8A90F
	v_mul_f32_e32 v85, v15, v85                                // 000000008888: 0AAAAB0F
	v_mul_f32_e32 v86, v15, v86                                // 00000000888C: 0AACAD0F
	v_mul_f32_e32 v87, v15, v87                                // 000000008890: 0AAEAF0F
	v_mul_f32_dpp v84, v48, v84 row_newbcast:8 row_mask:0xf bank_mask:0xf// 000000008894: 0AA8A8FA FF015830
	v_mul_f32_dpp v85, v48, v85 row_newbcast:9 row_mask:0xf bank_mask:0xf// 00000000889C: 0AAAAAFA FF015930
	v_mul_f32_dpp v86, v48, v86 row_newbcast:10 row_mask:0xf bank_mask:0xf// 0000000088A4: 0AACACFA FF015A30
	v_mul_f32_dpp v87, v48, v87 row_newbcast:11 row_mask:0xf bank_mask:0xf// 0000000088AC: 0AAEAEFA FF015B30
	v_cvt_f32_i32_e32 v88, v88                                 // 0000000088B4: 7EB00B58
	v_cvt_f32_i32_e32 v89, v89                                 // 0000000088B8: 7EB20B59
	v_cvt_f32_i32_e32 v90, v90                                 // 0000000088BC: 7EB40B5A
	v_cvt_f32_i32_e32 v91, v91                                 // 0000000088C0: 7EB60B5B
	v_mul_f32_e32 v88, v14, v88                                // 0000000088C4: 0AB0B10E
	v_mul_f32_e32 v89, v14, v89                                // 0000000088C8: 0AB2B30E
	v_mul_f32_e32 v90, v14, v90                                // 0000000088CC: 0AB4B50E
	v_mul_f32_e32 v91, v14, v91                                // 0000000088D0: 0AB6B70E
	v_mul_f32_dpp v88, v48, v88 row_newbcast:12 row_mask:0xf bank_mask:0xf// 0000000088D4: 0AB0B0FA FF015C30
	v_mul_f32_dpp v89, v48, v89 row_newbcast:13 row_mask:0xf bank_mask:0xf// 0000000088DC: 0AB2B2FA FF015D30
	v_mul_f32_dpp v90, v48, v90 row_newbcast:14 row_mask:0xf bank_mask:0xf// 0000000088E4: 0AB4B4FA FF015E30
	v_mul_f32_dpp v91, v48, v91 row_newbcast:15 row_mask:0xf bank_mask:0xf// 0000000088EC: 0AB6B6FA FF015F30
	v_cvt_f32_i32_e32 v92, v92                                 // 0000000088F4: 7EB80B5C
	v_cvt_f32_i32_e32 v93, v93                                 // 0000000088F8: 7EBA0B5D
	v_cvt_f32_i32_e32 v94, v94                                 // 0000000088FC: 7EBC0B5E
	v_cvt_f32_i32_e32 v95, v95                                 // 000000008900: 7EBE0B5F
	v_mul_f32_e32 v92, v15, v92                                // 000000008904: 0AB8B90F
	v_mul_f32_e32 v93, v15, v93                                // 000000008908: 0ABABB0F
	v_mul_f32_e32 v94, v15, v94                                // 00000000890C: 0ABCBD0F
	v_mul_f32_e32 v95, v15, v95                                // 000000008910: 0ABEBF0F
	v_mul_f32_dpp v92, v48, v92 row_newbcast:12 row_mask:0xf bank_mask:0xf// 000000008914: 0AB8B8FA FF015C30
	v_mul_f32_dpp v93, v48, v93 row_newbcast:13 row_mask:0xf bank_mask:0xf// 00000000891C: 0ABABAFA FF015D30
	v_mul_f32_dpp v94, v48, v94 row_newbcast:14 row_mask:0xf bank_mask:0xf// 000000008924: 0ABCBCFA FF015E30
	v_mul_f32_dpp v95, v48, v95 row_newbcast:15 row_mask:0xf bank_mask:0xf// 00000000892C: 0ABEBEFA FF015F30
	v_cvt_f32_i32_e32 v96, v96                                 // 000000008934: 7EC00B60
	v_cvt_f32_i32_e32 v97, v97                                 // 000000008938: 7EC20B61
	v_cvt_f32_i32_e32 v98, v98                                 // 00000000893C: 7EC40B62
	v_cvt_f32_i32_e32 v99, v99                                 // 000000008940: 7EC60B63
	v_mul_f32_e32 v96, v14, v96                                // 000000008944: 0AC0C10E
	v_mul_f32_e32 v97, v14, v97                                // 000000008948: 0AC2C30E
	v_mul_f32_e32 v98, v14, v98                                // 00000000894C: 0AC4C50E
	v_mul_f32_e32 v99, v14, v99                                // 000000008950: 0AC6C70E
	v_mul_f32_dpp v96, v49, v96 row_newbcast:0 row_mask:0xf bank_mask:0xf// 000000008954: 0AC0C0FA FF015031
	v_mul_f32_dpp v97, v49, v97 row_newbcast:1 row_mask:0xf bank_mask:0xf// 00000000895C: 0AC2C2FA FF015131
	v_mul_f32_dpp v98, v49, v98 row_newbcast:2 row_mask:0xf bank_mask:0xf// 000000008964: 0AC4C4FA FF015231
	v_mul_f32_dpp v99, v49, v99 row_newbcast:3 row_mask:0xf bank_mask:0xf// 00000000896C: 0AC6C6FA FF015331
	v_cvt_f32_i32_e32 v100, v100                               // 000000008974: 7EC80B64
	v_cvt_f32_i32_e32 v101, v101                               // 000000008978: 7ECA0B65
	v_cvt_f32_i32_e32 v102, v102                               // 00000000897C: 7ECC0B66
	v_cvt_f32_i32_e32 v103, v103                               // 000000008980: 7ECE0B67
	v_mul_f32_e32 v100, v15, v100                              // 000000008984: 0AC8C90F
	v_mul_f32_e32 v101, v15, v101                              // 000000008988: 0ACACB0F
	v_mul_f32_e32 v102, v15, v102                              // 00000000898C: 0ACCCD0F
	v_mul_f32_e32 v103, v15, v103                              // 000000008990: 0ACECF0F
	v_mul_f32_dpp v100, v49, v100 row_newbcast:0 row_mask:0xf bank_mask:0xf// 000000008994: 0AC8C8FA FF015031
	v_mul_f32_dpp v101, v49, v101 row_newbcast:1 row_mask:0xf bank_mask:0xf// 00000000899C: 0ACACAFA FF015131
	v_mul_f32_dpp v102, v49, v102 row_newbcast:2 row_mask:0xf bank_mask:0xf// 0000000089A4: 0ACCCCFA FF015231
	v_mul_f32_dpp v103, v49, v103 row_newbcast:3 row_mask:0xf bank_mask:0xf// 0000000089AC: 0ACECEFA FF015331
	v_cvt_f32_i32_e32 v104, v104                               // 0000000089B4: 7ED00B68
	v_cvt_f32_i32_e32 v105, v105                               // 0000000089B8: 7ED20B69
	v_cvt_f32_i32_e32 v106, v106                               // 0000000089BC: 7ED40B6A
	v_cvt_f32_i32_e32 v107, v107                               // 0000000089C0: 7ED60B6B
	v_mul_f32_e32 v104, v14, v104                              // 0000000089C4: 0AD0D10E
	v_mul_f32_e32 v105, v14, v105                              // 0000000089C8: 0AD2D30E
	v_mul_f32_e32 v106, v14, v106                              // 0000000089CC: 0AD4D50E
	v_mul_f32_e32 v107, v14, v107                              // 0000000089D0: 0AD6D70E
	v_mul_f32_dpp v104, v49, v104 row_newbcast:4 row_mask:0xf bank_mask:0xf// 0000000089D4: 0AD0D0FA FF015431
	v_mul_f32_dpp v105, v49, v105 row_newbcast:5 row_mask:0xf bank_mask:0xf// 0000000089DC: 0AD2D2FA FF015531
	v_mul_f32_dpp v106, v49, v106 row_newbcast:6 row_mask:0xf bank_mask:0xf// 0000000089E4: 0AD4D4FA FF015631
	v_mul_f32_dpp v107, v49, v107 row_newbcast:7 row_mask:0xf bank_mask:0xf// 0000000089EC: 0AD6D6FA FF015731
	v_cvt_f32_i32_e32 v108, v108                               // 0000000089F4: 7ED80B6C
	v_cvt_f32_i32_e32 v109, v109                               // 0000000089F8: 7EDA0B6D
	v_cvt_f32_i32_e32 v110, v110                               // 0000000089FC: 7EDC0B6E
	v_cvt_f32_i32_e32 v111, v111                               // 000000008A00: 7EDE0B6F
	v_mul_f32_e32 v108, v15, v108                              // 000000008A04: 0AD8D90F
	v_mul_f32_e32 v109, v15, v109                              // 000000008A08: 0ADADB0F
	v_mul_f32_e32 v110, v15, v110                              // 000000008A0C: 0ADCDD0F
	v_mul_f32_e32 v111, v15, v111                              // 000000008A10: 0ADEDF0F
	v_mul_f32_dpp v108, v49, v108 row_newbcast:4 row_mask:0xf bank_mask:0xf// 000000008A14: 0AD8D8FA FF015431
	v_mul_f32_dpp v109, v49, v109 row_newbcast:5 row_mask:0xf bank_mask:0xf// 000000008A1C: 0ADADAFA FF015531
	v_mul_f32_dpp v110, v49, v110 row_newbcast:6 row_mask:0xf bank_mask:0xf// 000000008A24: 0ADCDCFA FF015631
	v_mul_f32_dpp v111, v49, v111 row_newbcast:7 row_mask:0xf bank_mask:0xf// 000000008A2C: 0ADEDEFA FF015731
	s_waitcnt vmcnt(20)                                        // 000000008A34: BF8C4F74
	buffer_load_dwordx4 a[0:3], v40, s[12:15], 0 offen         // 000000008A38: E05C1000 80830028
	v_mul_f32_e32 v50, v128, v128                              // 000000008A40: 0A650180
	v_mul_f32_e32 v51, v129, v129                              // 000000008A44: 0A670381
	v_mul_f32_e32 v52, v130, v130                              // 000000008A48: 0A690582
	v_mul_f32_e32 v53, v131, v131                              // 000000008A4C: 0A6B0783
	v_fma_f32 v50, v50, s77, v1                                // 000000008A50: D1CB0032 04049B32
	v_fma_f32 v51, v51, s77, v1                                // 000000008A58: D1CB0033 04049B33
	v_fma_f32 v52, v52, s77, v1                                // 000000008A60: D1CB0034 04049B34
	v_fma_f32 v53, v53, s77, v1                                // 000000008A68: D1CB0035 04049B35
	v_mul_f32_e32 v50, v50, v128                               // 000000008A70: 0A650132
	v_mul_f32_e32 v51, v51, v129                               // 000000008A74: 0A670333
	v_mul_f32_e32 v52, v52, v130                               // 000000008A78: 0A690534
	v_mul_f32_e32 v53, v53, v131                               // 000000008A7C: 0A6B0735
	v_mul_f32_e64 v50, v50, s6                                 // 000000008A80: D1050032 00000D32
	v_mul_f32_e64 v51, v51, s6                                 // 000000008A88: D1050033 00000D33
	v_mul_f32_e64 v52, v52, s6                                 // 000000008A90: D1050034 00000D34
	v_mul_f32_e64 v53, v53, s6                                 // 000000008A98: D1050035 00000D35
	v_exp_f32_e32 v50, v50                                     // 000000008AA0: 7E644132
	v_exp_f32_e32 v51, v51                                     // 000000008AA4: 7E664133
	v_exp_f32_e32 v52, v52                                     // 000000008AA8: 7E684134
	v_exp_f32_e32 v53, v53                                     // 000000008AAC: 7E6A4135
	buffer_load_dwordx4 a[4:7], v41, s[12:15], 0 offen         // 000000008AB0: E05C1000 80830429
	v_add_f32_e64 v50, v50, 1.0                                // 000000008AB8: D1010032 0001E532
	v_add_f32_e64 v51, v51, 1.0                                // 000000008AC0: D1010033 0001E533
	v_add_f32_e64 v52, v52, 1.0                                // 000000008AC8: D1010034 0001E534
	v_add_f32_e64 v53, v53, 1.0                                // 000000008AD0: D1010035 0001E535
	v_rcp_f32_e32 v50, v50                                     // 000000008AD8: 7E644532
	v_rcp_f32_e32 v51, v51                                     // 000000008ADC: 7E664533
	v_rcp_f32_e32 v52, v52                                     // 000000008AE0: 7E684534
	v_rcp_f32_e32 v53, v53                                     // 000000008AE4: 7E6A4535
	v_mul_f32_e32 v128, v128, v50                              // 000000008AE8: 0B006580
	v_mul_f32_e32 v129, v129, v51                              // 000000008AEC: 0B026781
	v_mul_f32_e32 v130, v130, v52                              // 000000008AF0: 0B046982
	v_mul_f32_e32 v131, v131, v53                              // 000000008AF4: 0B066B83
	v_mul_f32_e32 v128, v128, v64                              // 000000008AF8: 0B008180
	v_mul_f32_e32 v129, v129, v65                              // 000000008AFC: 0B028381
	v_mul_f32_e32 v130, v130, v66                              // 000000008B00: 0B048582
	v_mul_f32_e32 v131, v131, v67                              // 000000008B04: 0B068783
	buffer_load_dwordx4 a[8:11], v42, s[12:15], 0 offen        // 000000008B08: E05C1000 8083082A
	v_mul_f32_e32 v50, v132, v132                              // 000000008B10: 0A650984
	v_mul_f32_e32 v51, v133, v133                              // 000000008B14: 0A670B85
	v_mul_f32_e32 v52, v134, v134                              // 000000008B18: 0A690D86
	v_mul_f32_e32 v53, v135, v135                              // 000000008B1C: 0A6B0F87
	v_fma_f32 v50, v50, s77, v1                                // 000000008B20: D1CB0032 04049B32
	v_fma_f32 v51, v51, s77, v1                                // 000000008B28: D1CB0033 04049B33
	v_fma_f32 v52, v52, s77, v1                                // 000000008B30: D1CB0034 04049B34
	v_fma_f32 v53, v53, s77, v1                                // 000000008B38: D1CB0035 04049B35
	v_mul_f32_e32 v50, v50, v132                               // 000000008B40: 0A650932
	v_mul_f32_e32 v51, v51, v133                               // 000000008B44: 0A670B33
	v_mul_f32_e32 v52, v52, v134                               // 000000008B48: 0A690D34
	v_mul_f32_e32 v53, v53, v135                               // 000000008B4C: 0A6B0F35
	v_mul_f32_e64 v50, v50, s6                                 // 000000008B50: D1050032 00000D32
	v_mul_f32_e64 v51, v51, s6                                 // 000000008B58: D1050033 00000D33
	v_mul_f32_e64 v52, v52, s6                                 // 000000008B60: D1050034 00000D34
	v_mul_f32_e64 v53, v53, s6                                 // 000000008B68: D1050035 00000D35
	v_exp_f32_e32 v50, v50                                     // 000000008B70: 7E644132
	v_exp_f32_e32 v51, v51                                     // 000000008B74: 7E664133
	v_exp_f32_e32 v52, v52                                     // 000000008B78: 7E684134
	v_exp_f32_e32 v53, v53                                     // 000000008B7C: 7E6A4135
	buffer_load_dwordx4 a[12:15], v43, s[12:15], 0 offen       // 000000008B80: E05C1000 80830C2B
	s_add_u32 s12, s78, s12                                    // 000000008B88: 800C0C4E
	s_addc_u32 s13, 0, s13                                     // 000000008B8C: 820D0D80
	v_add_f32_e64 v50, v50, 1.0                                // 000000008B90: D1010032 0001E532
	v_add_f32_e64 v51, v51, 1.0                                // 000000008B98: D1010033 0001E533
	v_add_f32_e64 v52, v52, 1.0                                // 000000008BA0: D1010034 0001E534
	v_add_f32_e64 v53, v53, 1.0                                // 000000008BA8: D1010035 0001E535
	v_rcp_f32_e32 v50, v50                                     // 000000008BB0: 7E644532
	v_rcp_f32_e32 v51, v51                                     // 000000008BB4: 7E664533
	v_rcp_f32_e32 v52, v52                                     // 000000008BB8: 7E684534
	v_rcp_f32_e32 v53, v53                                     // 000000008BBC: 7E6A4535
	v_mul_f32_e32 v132, v132, v50                              // 000000008BC0: 0B086584
	v_mul_f32_e32 v133, v133, v51                              // 000000008BC4: 0B0A6785
	v_mul_f32_e32 v134, v134, v52                              // 000000008BC8: 0B0C6986
	v_mul_f32_e32 v135, v135, v53                              // 000000008BCC: 0B0E6B87
	v_mul_f32_e32 v132, v132, v68                              // 000000008BD0: 0B088984
	v_mul_f32_e32 v133, v133, v69                              // 000000008BD4: 0B0A8B85
	v_mul_f32_e32 v134, v134, v70                              // 000000008BD8: 0B0C8D86
	v_mul_f32_e32 v135, v135, v71                              // 000000008BDC: 0B0E8F87
	s_waitcnt vmcnt(20)                                        // 000000008BE0: BF8C4F74
	buffer_load_dwordx4 a[16:19], v40, s[12:15], 0 offen       // 000000008BE4: E05C1000 80831028
	v_mul_f32_e32 v50, v136, v136                              // 000000008BEC: 0A651188
	v_mul_f32_e32 v51, v137, v137                              // 000000008BF0: 0A671389
	v_mul_f32_e32 v52, v138, v138                              // 000000008BF4: 0A69158A
	v_mul_f32_e32 v53, v139, v139                              // 000000008BF8: 0A6B178B
	v_fma_f32 v50, v50, s77, v1                                // 000000008BFC: D1CB0032 04049B32
	v_fma_f32 v51, v51, s77, v1                                // 000000008C04: D1CB0033 04049B33
	v_fma_f32 v52, v52, s77, v1                                // 000000008C0C: D1CB0034 04049B34
	v_fma_f32 v53, v53, s77, v1                                // 000000008C14: D1CB0035 04049B35
	v_mul_f32_e32 v50, v50, v136                               // 000000008C1C: 0A651132
	v_mul_f32_e32 v51, v51, v137                               // 000000008C20: 0A671333
	v_mul_f32_e32 v52, v52, v138                               // 000000008C24: 0A691534
	v_mul_f32_e32 v53, v53, v139                               // 000000008C28: 0A6B1735
	v_mul_f32_e64 v50, v50, s6                                 // 000000008C2C: D1050032 00000D32
	v_mul_f32_e64 v51, v51, s6                                 // 000000008C34: D1050033 00000D33
	v_mul_f32_e64 v52, v52, s6                                 // 000000008C3C: D1050034 00000D34
	v_mul_f32_e64 v53, v53, s6                                 // 000000008C44: D1050035 00000D35
	v_exp_f32_e32 v50, v50                                     // 000000008C4C: 7E644132
	v_exp_f32_e32 v51, v51                                     // 000000008C50: 7E664133
	v_exp_f32_e32 v52, v52                                     // 000000008C54: 7E684134
	v_exp_f32_e32 v53, v53                                     // 000000008C58: 7E6A4135
	buffer_load_dwordx4 a[20:23], v41, s[12:15], 0 offen       // 000000008C5C: E05C1000 80831429
	v_add_f32_e64 v50, v50, 1.0                                // 000000008C64: D1010032 0001E532
	v_add_f32_e64 v51, v51, 1.0                                // 000000008C6C: D1010033 0001E533
	v_add_f32_e64 v52, v52, 1.0                                // 000000008C74: D1010034 0001E534
	v_add_f32_e64 v53, v53, 1.0                                // 000000008C7C: D1010035 0001E535
	v_rcp_f32_e32 v50, v50                                     // 000000008C84: 7E644532
	v_rcp_f32_e32 v51, v51                                     // 000000008C88: 7E664533
	v_rcp_f32_e32 v52, v52                                     // 000000008C8C: 7E684534
	v_rcp_f32_e32 v53, v53                                     // 000000008C90: 7E6A4535
	v_mul_f32_e32 v136, v136, v50                              // 000000008C94: 0B106588
	v_mul_f32_e32 v137, v137, v51                              // 000000008C98: 0B126789
	v_mul_f32_e32 v138, v138, v52                              // 000000008C9C: 0B14698A
	v_mul_f32_e32 v139, v139, v53                              // 000000008CA0: 0B166B8B
	v_mul_f32_e32 v136, v136, v72                              // 000000008CA4: 0B109188
	v_mul_f32_e32 v137, v137, v73                              // 000000008CA8: 0B129389
	v_mul_f32_e32 v138, v138, v74                              // 000000008CAC: 0B14958A
	v_mul_f32_e32 v139, v139, v75                              // 000000008CB0: 0B16978B
	buffer_load_dwordx4 a[24:27], v42, s[12:15], 0 offen       // 000000008CB4: E05C1000 8083182A
	v_mul_f32_e32 v50, v140, v140                              // 000000008CBC: 0A65198C
	v_mul_f32_e32 v51, v141, v141                              // 000000008CC0: 0A671B8D
	v_mul_f32_e32 v52, v142, v142                              // 000000008CC4: 0A691D8E
	v_mul_f32_e32 v53, v143, v143                              // 000000008CC8: 0A6B1F8F
	v_fma_f32 v50, v50, s77, v1                                // 000000008CCC: D1CB0032 04049B32
	v_fma_f32 v51, v51, s77, v1                                // 000000008CD4: D1CB0033 04049B33
	v_fma_f32 v52, v52, s77, v1                                // 000000008CDC: D1CB0034 04049B34
	v_fma_f32 v53, v53, s77, v1                                // 000000008CE4: D1CB0035 04049B35
	v_mul_f32_e32 v50, v50, v140                               // 000000008CEC: 0A651932
	v_mul_f32_e32 v51, v51, v141                               // 000000008CF0: 0A671B33
	v_mul_f32_e32 v52, v52, v142                               // 000000008CF4: 0A691D34
	v_mul_f32_e32 v53, v53, v143                               // 000000008CF8: 0A6B1F35
	v_mul_f32_e64 v50, v50, s6                                 // 000000008CFC: D1050032 00000D32
	v_mul_f32_e64 v51, v51, s6                                 // 000000008D04: D1050033 00000D33
	v_mul_f32_e64 v52, v52, s6                                 // 000000008D0C: D1050034 00000D34
	v_mul_f32_e64 v53, v53, s6                                 // 000000008D14: D1050035 00000D35
	v_exp_f32_e32 v50, v50                                     // 000000008D1C: 7E644132
	v_exp_f32_e32 v51, v51                                     // 000000008D20: 7E664133
	v_exp_f32_e32 v52, v52                                     // 000000008D24: 7E684134
	v_exp_f32_e32 v53, v53                                     // 000000008D28: 7E6A4135
	buffer_load_dwordx4 a[28:31], v43, s[12:15], 0 offen       // 000000008D2C: E05C1000 80831C2B
	s_add_u32 s12, s78, s12                                    // 000000008D34: 800C0C4E
	s_addc_u32 s13, 0, s13                                     // 000000008D38: 820D0D80
	v_add_f32_e64 v50, v50, 1.0                                // 000000008D3C: D1010032 0001E532
	v_add_f32_e64 v51, v51, 1.0                                // 000000008D44: D1010033 0001E533
	v_add_f32_e64 v52, v52, 1.0                                // 000000008D4C: D1010034 0001E534
	v_add_f32_e64 v53, v53, 1.0                                // 000000008D54: D1010035 0001E535
	v_rcp_f32_e32 v50, v50                                     // 000000008D5C: 7E644532
	v_rcp_f32_e32 v51, v51                                     // 000000008D60: 7E664533
	v_rcp_f32_e32 v52, v52                                     // 000000008D64: 7E684534
	v_rcp_f32_e32 v53, v53                                     // 000000008D68: 7E6A4535
	v_mul_f32_e32 v140, v140, v50                              // 000000008D6C: 0B18658C
	v_mul_f32_e32 v141, v141, v51                              // 000000008D70: 0B1A678D
	v_mul_f32_e32 v142, v142, v52                              // 000000008D74: 0B1C698E
	v_mul_f32_e32 v143, v143, v53                              // 000000008D78: 0B1E6B8F
	v_mul_f32_e32 v140, v140, v76                              // 000000008D7C: 0B18998C
	v_mul_f32_e32 v141, v141, v77                              // 000000008D80: 0B1A9B8D
	v_mul_f32_e32 v142, v142, v78                              // 000000008D84: 0B1C9D8E
	v_mul_f32_e32 v143, v143, v79                              // 000000008D88: 0B1E9F8F
	s_waitcnt vmcnt(20)                                        // 000000008D8C: BF8C4F74
	buffer_load_dwordx4 a[32:35], v40, s[12:15], 0 offen       // 000000008D90: E05C1000 80832028
	v_mul_f32_e32 v50, v144, v144                              // 000000008D98: 0A652190
	v_mul_f32_e32 v51, v145, v145                              // 000000008D9C: 0A672391
	v_mul_f32_e32 v52, v146, v146                              // 000000008DA0: 0A692592
	v_mul_f32_e32 v53, v147, v147                              // 000000008DA4: 0A6B2793
	v_fma_f32 v50, v50, s77, v1                                // 000000008DA8: D1CB0032 04049B32
	v_fma_f32 v51, v51, s77, v1                                // 000000008DB0: D1CB0033 04049B33
	v_fma_f32 v52, v52, s77, v1                                // 000000008DB8: D1CB0034 04049B34
	v_fma_f32 v53, v53, s77, v1                                // 000000008DC0: D1CB0035 04049B35
	v_mul_f32_e32 v50, v50, v144                               // 000000008DC8: 0A652132
	v_mul_f32_e32 v51, v51, v145                               // 000000008DCC: 0A672333
	v_mul_f32_e32 v52, v52, v146                               // 000000008DD0: 0A692534
	v_mul_f32_e32 v53, v53, v147                               // 000000008DD4: 0A6B2735
	v_mul_f32_e64 v50, v50, s6                                 // 000000008DD8: D1050032 00000D32
	v_mul_f32_e64 v51, v51, s6                                 // 000000008DE0: D1050033 00000D33
	v_mul_f32_e64 v52, v52, s6                                 // 000000008DE8: D1050034 00000D34
	v_mul_f32_e64 v53, v53, s6                                 // 000000008DF0: D1050035 00000D35
	v_exp_f32_e32 v50, v50                                     // 000000008DF8: 7E644132
	v_exp_f32_e32 v51, v51                                     // 000000008DFC: 7E664133
	v_exp_f32_e32 v52, v52                                     // 000000008E00: 7E684134
	v_exp_f32_e32 v53, v53                                     // 000000008E04: 7E6A4135
	buffer_load_dwordx4 a[36:39], v41, s[12:15], 0 offen       // 000000008E08: E05C1000 80832429
	v_add_f32_e64 v50, v50, 1.0                                // 000000008E10: D1010032 0001E532
	v_add_f32_e64 v51, v51, 1.0                                // 000000008E18: D1010033 0001E533
	v_add_f32_e64 v52, v52, 1.0                                // 000000008E20: D1010034 0001E534
	v_add_f32_e64 v53, v53, 1.0                                // 000000008E28: D1010035 0001E535
	v_rcp_f32_e32 v50, v50                                     // 000000008E30: 7E644532
	v_rcp_f32_e32 v51, v51                                     // 000000008E34: 7E664533
	v_rcp_f32_e32 v52, v52                                     // 000000008E38: 7E684534
	v_rcp_f32_e32 v53, v53                                     // 000000008E3C: 7E6A4535
	v_mul_f32_e32 v144, v144, v50                              // 000000008E40: 0B206590
	v_mul_f32_e32 v145, v145, v51                              // 000000008E44: 0B226791
	v_mul_f32_e32 v146, v146, v52                              // 000000008E48: 0B246992
	v_mul_f32_e32 v147, v147, v53                              // 000000008E4C: 0B266B93
	v_mul_f32_e32 v144, v144, v80                              // 000000008E50: 0B20A190
	v_mul_f32_e32 v145, v145, v81                              // 000000008E54: 0B22A391
	v_mul_f32_e32 v146, v146, v82                              // 000000008E58: 0B24A592
	v_mul_f32_e32 v147, v147, v83                              // 000000008E5C: 0B26A793
	buffer_load_dwordx4 a[40:43], v42, s[12:15], 0 offen       // 000000008E60: E05C1000 8083282A
	v_mul_f32_e32 v50, v148, v148                              // 000000008E68: 0A652994
	v_mul_f32_e32 v51, v149, v149                              // 000000008E6C: 0A672B95
	v_mul_f32_e32 v52, v150, v150                              // 000000008E70: 0A692D96
	v_mul_f32_e32 v53, v151, v151                              // 000000008E74: 0A6B2F97
	v_fma_f32 v50, v50, s77, v1                                // 000000008E78: D1CB0032 04049B32
	v_fma_f32 v51, v51, s77, v1                                // 000000008E80: D1CB0033 04049B33
	v_fma_f32 v52, v52, s77, v1                                // 000000008E88: D1CB0034 04049B34
	v_fma_f32 v53, v53, s77, v1                                // 000000008E90: D1CB0035 04049B35
	v_mul_f32_e32 v50, v50, v148                               // 000000008E98: 0A652932
	v_mul_f32_e32 v51, v51, v149                               // 000000008E9C: 0A672B33
	v_mul_f32_e32 v52, v52, v150                               // 000000008EA0: 0A692D34
	v_mul_f32_e32 v53, v53, v151                               // 000000008EA4: 0A6B2F35
	v_mul_f32_e64 v50, v50, s6                                 // 000000008EA8: D1050032 00000D32
	v_mul_f32_e64 v51, v51, s6                                 // 000000008EB0: D1050033 00000D33
	v_mul_f32_e64 v52, v52, s6                                 // 000000008EB8: D1050034 00000D34
	v_mul_f32_e64 v53, v53, s6                                 // 000000008EC0: D1050035 00000D35
	v_exp_f32_e32 v50, v50                                     // 000000008EC8: 7E644132
	v_exp_f32_e32 v51, v51                                     // 000000008ECC: 7E664133
	v_exp_f32_e32 v52, v52                                     // 000000008ED0: 7E684134
	v_exp_f32_e32 v53, v53                                     // 000000008ED4: 7E6A4135
	buffer_load_dwordx4 a[44:47], v43, s[12:15], 0 offen       // 000000008ED8: E05C1000 80832C2B
	s_add_u32 s12, s78, s12                                    // 000000008EE0: 800C0C4E
	s_addc_u32 s13, 0, s13                                     // 000000008EE4: 820D0D80
	v_add_f32_e64 v50, v50, 1.0                                // 000000008EE8: D1010032 0001E532
	v_add_f32_e64 v51, v51, 1.0                                // 000000008EF0: D1010033 0001E533
	v_add_f32_e64 v52, v52, 1.0                                // 000000008EF8: D1010034 0001E534
	v_add_f32_e64 v53, v53, 1.0                                // 000000008F00: D1010035 0001E535
	v_rcp_f32_e32 v50, v50                                     // 000000008F08: 7E644532
	v_rcp_f32_e32 v51, v51                                     // 000000008F0C: 7E664533
	v_rcp_f32_e32 v52, v52                                     // 000000008F10: 7E684534
	v_rcp_f32_e32 v53, v53                                     // 000000008F14: 7E6A4535
	v_mul_f32_e32 v148, v148, v50                              // 000000008F18: 0B286594
	v_mul_f32_e32 v149, v149, v51                              // 000000008F1C: 0B2A6795
	v_mul_f32_e32 v150, v150, v52                              // 000000008F20: 0B2C6996
	v_mul_f32_e32 v151, v151, v53                              // 000000008F24: 0B2E6B97
	v_mul_f32_e32 v148, v148, v84                              // 000000008F28: 0B28A994
	v_mul_f32_e32 v149, v149, v85                              // 000000008F2C: 0B2AAB95
	v_mul_f32_e32 v150, v150, v86                              // 000000008F30: 0B2CAD96
	v_mul_f32_e32 v151, v151, v87                              // 000000008F34: 0B2EAF97
	s_waitcnt vmcnt(20)                                        // 000000008F38: BF8C4F74
	buffer_load_dwordx4 a[48:51], v40, s[12:15], 0 offen       // 000000008F3C: E05C1000 80833028
	v_mul_f32_e32 v50, v152, v152                              // 000000008F44: 0A653198
	v_mul_f32_e32 v51, v153, v153                              // 000000008F48: 0A673399
	v_mul_f32_e32 v52, v154, v154                              // 000000008F4C: 0A69359A
	v_mul_f32_e32 v53, v155, v155                              // 000000008F50: 0A6B379B
	v_fma_f32 v50, v50, s77, v1                                // 000000008F54: D1CB0032 04049B32
	v_fma_f32 v51, v51, s77, v1                                // 000000008F5C: D1CB0033 04049B33
	v_fma_f32 v52, v52, s77, v1                                // 000000008F64: D1CB0034 04049B34
	v_fma_f32 v53, v53, s77, v1                                // 000000008F6C: D1CB0035 04049B35
	v_mul_f32_e32 v50, v50, v152                               // 000000008F74: 0A653132
	v_mul_f32_e32 v51, v51, v153                               // 000000008F78: 0A673333
	v_mul_f32_e32 v52, v52, v154                               // 000000008F7C: 0A693534
	v_mul_f32_e32 v53, v53, v155                               // 000000008F80: 0A6B3735
	v_mul_f32_e64 v50, v50, s6                                 // 000000008F84: D1050032 00000D32
	v_mul_f32_e64 v51, v51, s6                                 // 000000008F8C: D1050033 00000D33
	v_mul_f32_e64 v52, v52, s6                                 // 000000008F94: D1050034 00000D34
	v_mul_f32_e64 v53, v53, s6                                 // 000000008F9C: D1050035 00000D35
	v_exp_f32_e32 v50, v50                                     // 000000008FA4: 7E644132
	v_exp_f32_e32 v51, v51                                     // 000000008FA8: 7E664133
	v_exp_f32_e32 v52, v52                                     // 000000008FAC: 7E684134
	v_exp_f32_e32 v53, v53                                     // 000000008FB0: 7E6A4135
	buffer_load_dwordx4 a[52:55], v41, s[12:15], 0 offen       // 000000008FB4: E05C1000 80833429
	v_add_f32_e64 v50, v50, 1.0                                // 000000008FBC: D1010032 0001E532
	v_add_f32_e64 v51, v51, 1.0                                // 000000008FC4: D1010033 0001E533
	v_add_f32_e64 v52, v52, 1.0                                // 000000008FCC: D1010034 0001E534
	v_add_f32_e64 v53, v53, 1.0                                // 000000008FD4: D1010035 0001E535
	v_rcp_f32_e32 v50, v50                                     // 000000008FDC: 7E644532
	v_rcp_f32_e32 v51, v51                                     // 000000008FE0: 7E664533
	v_rcp_f32_e32 v52, v52                                     // 000000008FE4: 7E684534
	v_rcp_f32_e32 v53, v53                                     // 000000008FE8: 7E6A4535
	v_mul_f32_e32 v152, v152, v50                              // 000000008FEC: 0B306598
	v_mul_f32_e32 v153, v153, v51                              // 000000008FF0: 0B326799
	v_mul_f32_e32 v154, v154, v52                              // 000000008FF4: 0B34699A
	v_mul_f32_e32 v155, v155, v53                              // 000000008FF8: 0B366B9B
	v_mul_f32_e32 v152, v152, v88                              // 000000008FFC: 0B30B198
	v_mul_f32_e32 v153, v153, v89                              // 000000009000: 0B32B399
	v_mul_f32_e32 v154, v154, v90                              // 000000009004: 0B34B59A
	v_mul_f32_e32 v155, v155, v91                              // 000000009008: 0B36B79B
	buffer_load_dwordx4 a[56:59], v42, s[12:15], 0 offen       // 00000000900C: E05C1000 8083382A
	v_mul_f32_e32 v50, v156, v156                              // 000000009014: 0A65399C
	v_mul_f32_e32 v51, v157, v157                              // 000000009018: 0A673B9D
	v_mul_f32_e32 v52, v158, v158                              // 00000000901C: 0A693D9E
	v_mul_f32_e32 v53, v159, v159                              // 000000009020: 0A6B3F9F
	v_fma_f32 v50, v50, s77, v1                                // 000000009024: D1CB0032 04049B32
	v_fma_f32 v51, v51, s77, v1                                // 00000000902C: D1CB0033 04049B33
	v_fma_f32 v52, v52, s77, v1                                // 000000009034: D1CB0034 04049B34
	v_fma_f32 v53, v53, s77, v1                                // 00000000903C: D1CB0035 04049B35
	v_mul_f32_e32 v50, v50, v156                               // 000000009044: 0A653932
	v_mul_f32_e32 v51, v51, v157                               // 000000009048: 0A673B33
	v_mul_f32_e32 v52, v52, v158                               // 00000000904C: 0A693D34
	v_mul_f32_e32 v53, v53, v159                               // 000000009050: 0A6B3F35
	v_mul_f32_e64 v50, v50, s6                                 // 000000009054: D1050032 00000D32
	v_mul_f32_e64 v51, v51, s6                                 // 00000000905C: D1050033 00000D33
	v_mul_f32_e64 v52, v52, s6                                 // 000000009064: D1050034 00000D34
	v_mul_f32_e64 v53, v53, s6                                 // 00000000906C: D1050035 00000D35
	v_exp_f32_e32 v50, v50                                     // 000000009074: 7E644132
	v_exp_f32_e32 v51, v51                                     // 000000009078: 7E664133
	v_exp_f32_e32 v52, v52                                     // 00000000907C: 7E684134
	v_exp_f32_e32 v53, v53                                     // 000000009080: 7E6A4135
	buffer_load_dwordx4 a[60:63], v43, s[12:15], 0 offen       // 000000009084: E05C1000 80833C2B
	s_add_u32 s12, s78, s12                                    // 00000000908C: 800C0C4E
	s_addc_u32 s13, 0, s13                                     // 000000009090: 820D0D80
	v_add_f32_e64 v50, v50, 1.0                                // 000000009094: D1010032 0001E532
	v_add_f32_e64 v51, v51, 1.0                                // 00000000909C: D1010033 0001E533
	v_add_f32_e64 v52, v52, 1.0                                // 0000000090A4: D1010034 0001E534
	v_add_f32_e64 v53, v53, 1.0                                // 0000000090AC: D1010035 0001E535
	v_rcp_f32_e32 v50, v50                                     // 0000000090B4: 7E644532
	v_rcp_f32_e32 v51, v51                                     // 0000000090B8: 7E664533
	v_rcp_f32_e32 v52, v52                                     // 0000000090BC: 7E684534
	v_rcp_f32_e32 v53, v53                                     // 0000000090C0: 7E6A4535
	v_mul_f32_e32 v156, v156, v50                              // 0000000090C4: 0B38659C
	v_mul_f32_e32 v157, v157, v51                              // 0000000090C8: 0B3A679D
	v_mul_f32_e32 v158, v158, v52                              // 0000000090CC: 0B3C699E
	v_mul_f32_e32 v159, v159, v53                              // 0000000090D0: 0B3E6B9F
	v_mul_f32_e32 v156, v156, v92                              // 0000000090D4: 0B38B99C
	v_mul_f32_e32 v157, v157, v93                              // 0000000090D8: 0B3ABB9D
	v_mul_f32_e32 v158, v158, v94                              // 0000000090DC: 0B3CBD9E
	v_mul_f32_e32 v159, v159, v95                              // 0000000090E0: 0B3EBF9F
	s_waitcnt vmcnt(20)                                        // 0000000090E4: BF8C4F74
	buffer_load_dwordx4 a[64:67], v40, s[12:15], 0 offen       // 0000000090E8: E05C1000 80834028
	v_mul_f32_e32 v50, v160, v160                              // 0000000090F0: 0A6541A0
	v_mul_f32_e32 v51, v161, v161                              // 0000000090F4: 0A6743A1
	v_mul_f32_e32 v52, v162, v162                              // 0000000090F8: 0A6945A2
	v_mul_f32_e32 v53, v163, v163                              // 0000000090FC: 0A6B47A3
	v_fma_f32 v50, v50, s77, v1                                // 000000009100: D1CB0032 04049B32
	v_fma_f32 v51, v51, s77, v1                                // 000000009108: D1CB0033 04049B33
	v_fma_f32 v52, v52, s77, v1                                // 000000009110: D1CB0034 04049B34
	v_fma_f32 v53, v53, s77, v1                                // 000000009118: D1CB0035 04049B35
	v_mul_f32_e32 v50, v50, v160                               // 000000009120: 0A654132
	v_mul_f32_e32 v51, v51, v161                               // 000000009124: 0A674333
	v_mul_f32_e32 v52, v52, v162                               // 000000009128: 0A694534
	v_mul_f32_e32 v53, v53, v163                               // 00000000912C: 0A6B4735
	v_mul_f32_e64 v50, v50, s6                                 // 000000009130: D1050032 00000D32
	v_mul_f32_e64 v51, v51, s6                                 // 000000009138: D1050033 00000D33
	v_mul_f32_e64 v52, v52, s6                                 // 000000009140: D1050034 00000D34
	v_mul_f32_e64 v53, v53, s6                                 // 000000009148: D1050035 00000D35
	v_exp_f32_e32 v50, v50                                     // 000000009150: 7E644132
	v_exp_f32_e32 v51, v51                                     // 000000009154: 7E664133
	v_exp_f32_e32 v52, v52                                     // 000000009158: 7E684134
	v_exp_f32_e32 v53, v53                                     // 00000000915C: 7E6A4135
	buffer_load_dwordx4 a[68:71], v41, s[12:15], 0 offen       // 000000009160: E05C1000 80834429
	v_add_f32_e64 v50, v50, 1.0                                // 000000009168: D1010032 0001E532
	v_add_f32_e64 v51, v51, 1.0                                // 000000009170: D1010033 0001E533
	v_add_f32_e64 v52, v52, 1.0                                // 000000009178: D1010034 0001E534
	v_add_f32_e64 v53, v53, 1.0                                // 000000009180: D1010035 0001E535
	v_rcp_f32_e32 v50, v50                                     // 000000009188: 7E644532
	v_rcp_f32_e32 v51, v51                                     // 00000000918C: 7E664533
	v_rcp_f32_e32 v52, v52                                     // 000000009190: 7E684534
	v_rcp_f32_e32 v53, v53                                     // 000000009194: 7E6A4535
	v_mul_f32_e32 v160, v160, v50                              // 000000009198: 0B4065A0
	v_mul_f32_e32 v161, v161, v51                              // 00000000919C: 0B4267A1
	v_mul_f32_e32 v162, v162, v52                              // 0000000091A0: 0B4469A2
	v_mul_f32_e32 v163, v163, v53                              // 0000000091A4: 0B466BA3
	v_mul_f32_e32 v160, v160, v96                              // 0000000091A8: 0B40C1A0
	v_mul_f32_e32 v161, v161, v97                              // 0000000091AC: 0B42C3A1
	v_mul_f32_e32 v162, v162, v98                              // 0000000091B0: 0B44C5A2
	v_mul_f32_e32 v163, v163, v99                              // 0000000091B4: 0B46C7A3
	buffer_load_dwordx4 a[72:75], v42, s[12:15], 0 offen       // 0000000091B8: E05C1000 8083482A
	v_mul_f32_e32 v50, v164, v164                              // 0000000091C0: 0A6549A4
	v_mul_f32_e32 v51, v165, v165                              // 0000000091C4: 0A674BA5
	v_mul_f32_e32 v52, v166, v166                              // 0000000091C8: 0A694DA6
	v_mul_f32_e32 v53, v167, v167                              // 0000000091CC: 0A6B4FA7
	v_fma_f32 v50, v50, s77, v1                                // 0000000091D0: D1CB0032 04049B32
	v_fma_f32 v51, v51, s77, v1                                // 0000000091D8: D1CB0033 04049B33
	v_fma_f32 v52, v52, s77, v1                                // 0000000091E0: D1CB0034 04049B34
	v_fma_f32 v53, v53, s77, v1                                // 0000000091E8: D1CB0035 04049B35
	v_mul_f32_e32 v50, v50, v164                               // 0000000091F0: 0A654932
	v_mul_f32_e32 v51, v51, v165                               // 0000000091F4: 0A674B33
	v_mul_f32_e32 v52, v52, v166                               // 0000000091F8: 0A694D34
	v_mul_f32_e32 v53, v53, v167                               // 0000000091FC: 0A6B4F35
	v_mul_f32_e64 v50, v50, s6                                 // 000000009200: D1050032 00000D32
	v_mul_f32_e64 v51, v51, s6                                 // 000000009208: D1050033 00000D33
	v_mul_f32_e64 v52, v52, s6                                 // 000000009210: D1050034 00000D34
	v_mul_f32_e64 v53, v53, s6                                 // 000000009218: D1050035 00000D35
	v_exp_f32_e32 v50, v50                                     // 000000009220: 7E644132
	v_exp_f32_e32 v51, v51                                     // 000000009224: 7E664133
	v_exp_f32_e32 v52, v52                                     // 000000009228: 7E684134
	v_exp_f32_e32 v53, v53                                     // 00000000922C: 7E6A4135
	buffer_load_dwordx4 a[76:79], v43, s[12:15], 0 offen       // 000000009230: E05C1000 80834C2B
	s_add_u32 s12, s78, s12                                    // 000000009238: 800C0C4E
	s_addc_u32 s13, 0, s13                                     // 00000000923C: 820D0D80
	v_add_f32_e64 v50, v50, 1.0                                // 000000009240: D1010032 0001E532
	v_add_f32_e64 v51, v51, 1.0                                // 000000009248: D1010033 0001E533
	v_add_f32_e64 v52, v52, 1.0                                // 000000009250: D1010034 0001E534
	v_add_f32_e64 v53, v53, 1.0                                // 000000009258: D1010035 0001E535
	v_rcp_f32_e32 v50, v50                                     // 000000009260: 7E644532
	v_rcp_f32_e32 v51, v51                                     // 000000009264: 7E664533
	v_rcp_f32_e32 v52, v52                                     // 000000009268: 7E684534
	v_rcp_f32_e32 v53, v53                                     // 00000000926C: 7E6A4535
	v_mul_f32_e32 v164, v164, v50                              // 000000009270: 0B4865A4
	v_mul_f32_e32 v165, v165, v51                              // 000000009274: 0B4A67A5
	v_mul_f32_e32 v166, v166, v52                              // 000000009278: 0B4C69A6
	v_mul_f32_e32 v167, v167, v53                              // 00000000927C: 0B4E6BA7
	v_mul_f32_e32 v164, v164, v100                             // 000000009280: 0B48C9A4
	v_mul_f32_e32 v165, v165, v101                             // 000000009284: 0B4ACBA5
	v_mul_f32_e32 v166, v166, v102                             // 000000009288: 0B4CCDA6
	v_mul_f32_e32 v167, v167, v103                             // 00000000928C: 0B4ECFA7
	s_waitcnt vmcnt(20)                                        // 000000009290: BF8C4F74
	buffer_load_dwordx4 a[80:83], v40, s[12:15], 0 offen       // 000000009294: E05C1000 80835028
	v_mul_f32_e32 v50, v168, v168                              // 00000000929C: 0A6551A8
	v_mul_f32_e32 v51, v169, v169                              // 0000000092A0: 0A6753A9
	v_mul_f32_e32 v52, v170, v170                              // 0000000092A4: 0A6955AA
	v_mul_f32_e32 v53, v171, v171                              // 0000000092A8: 0A6B57AB
	v_fma_f32 v50, v50, s77, v1                                // 0000000092AC: D1CB0032 04049B32
	v_fma_f32 v51, v51, s77, v1                                // 0000000092B4: D1CB0033 04049B33
	v_fma_f32 v52, v52, s77, v1                                // 0000000092BC: D1CB0034 04049B34
	v_fma_f32 v53, v53, s77, v1                                // 0000000092C4: D1CB0035 04049B35
	v_mul_f32_e32 v50, v50, v168                               // 0000000092CC: 0A655132
	v_mul_f32_e32 v51, v51, v169                               // 0000000092D0: 0A675333
	v_mul_f32_e32 v52, v52, v170                               // 0000000092D4: 0A695534
	v_mul_f32_e32 v53, v53, v171                               // 0000000092D8: 0A6B5735
	v_mul_f32_e64 v50, v50, s6                                 // 0000000092DC: D1050032 00000D32
	v_mul_f32_e64 v51, v51, s6                                 // 0000000092E4: D1050033 00000D33
	v_mul_f32_e64 v52, v52, s6                                 // 0000000092EC: D1050034 00000D34
	v_mul_f32_e64 v53, v53, s6                                 // 0000000092F4: D1050035 00000D35
	v_exp_f32_e32 v50, v50                                     // 0000000092FC: 7E644132
	v_exp_f32_e32 v51, v51                                     // 000000009300: 7E664133
	v_exp_f32_e32 v52, v52                                     // 000000009304: 7E684134
	v_exp_f32_e32 v53, v53                                     // 000000009308: 7E6A4135
	buffer_load_dwordx4 a[84:87], v41, s[12:15], 0 offen       // 00000000930C: E05C1000 80835429
	v_add_f32_e64 v50, v50, 1.0                                // 000000009314: D1010032 0001E532
	v_add_f32_e64 v51, v51, 1.0                                // 00000000931C: D1010033 0001E533
	v_add_f32_e64 v52, v52, 1.0                                // 000000009324: D1010034 0001E534
	v_add_f32_e64 v53, v53, 1.0                                // 00000000932C: D1010035 0001E535
	v_rcp_f32_e32 v50, v50                                     // 000000009334: 7E644532
	v_rcp_f32_e32 v51, v51                                     // 000000009338: 7E664533
	v_rcp_f32_e32 v52, v52                                     // 00000000933C: 7E684534
	v_rcp_f32_e32 v53, v53                                     // 000000009340: 7E6A4535
	v_mul_f32_e32 v168, v168, v50                              // 000000009344: 0B5065A8
	v_mul_f32_e32 v169, v169, v51                              // 000000009348: 0B5267A9
	v_mul_f32_e32 v170, v170, v52                              // 00000000934C: 0B5469AA
	v_mul_f32_e32 v171, v171, v53                              // 000000009350: 0B566BAB
	v_mul_f32_e32 v168, v168, v104                             // 000000009354: 0B50D1A8
	v_mul_f32_e32 v169, v169, v105                             // 000000009358: 0B52D3A9
	v_mul_f32_e32 v170, v170, v106                             // 00000000935C: 0B54D5AA
	v_mul_f32_e32 v171, v171, v107                             // 000000009360: 0B56D7AB
	buffer_load_dwordx4 a[88:91], v42, s[12:15], 0 offen       // 000000009364: E05C1000 8083582A
	v_mul_f32_e32 v50, v172, v172                              // 00000000936C: 0A6559AC
	v_mul_f32_e32 v51, v173, v173                              // 000000009370: 0A675BAD
	v_mul_f32_e32 v52, v174, v174                              // 000000009374: 0A695DAE
	v_mul_f32_e32 v53, v175, v175                              // 000000009378: 0A6B5FAF
	v_fma_f32 v50, v50, s77, v1                                // 00000000937C: D1CB0032 04049B32
	v_fma_f32 v51, v51, s77, v1                                // 000000009384: D1CB0033 04049B33
	v_fma_f32 v52, v52, s77, v1                                // 00000000938C: D1CB0034 04049B34
	v_fma_f32 v53, v53, s77, v1                                // 000000009394: D1CB0035 04049B35
	v_mul_f32_e32 v50, v50, v172                               // 00000000939C: 0A655932
	v_mul_f32_e32 v51, v51, v173                               // 0000000093A0: 0A675B33
	v_mul_f32_e32 v52, v52, v174                               // 0000000093A4: 0A695D34
	v_mul_f32_e32 v53, v53, v175                               // 0000000093A8: 0A6B5F35
	v_mul_f32_e64 v50, v50, s6                                 // 0000000093AC: D1050032 00000D32
	v_mul_f32_e64 v51, v51, s6                                 // 0000000093B4: D1050033 00000D33
	v_mul_f32_e64 v52, v52, s6                                 // 0000000093BC: D1050034 00000D34
	v_mul_f32_e64 v53, v53, s6                                 // 0000000093C4: D1050035 00000D35
	v_exp_f32_e32 v50, v50                                     // 0000000093CC: 7E644132
	v_exp_f32_e32 v51, v51                                     // 0000000093D0: 7E664133
	v_exp_f32_e32 v52, v52                                     // 0000000093D4: 7E684134
	v_exp_f32_e32 v53, v53                                     // 0000000093D8: 7E6A4135
	buffer_load_dwordx4 a[92:95], v43, s[12:15], 0 offen       // 0000000093DC: E05C1000 80835C2B
	v_add_f32_e64 v50, v50, 1.0                                // 0000000093E4: D1010032 0001E532
	v_add_f32_e64 v51, v51, 1.0                                // 0000000093EC: D1010033 0001E533
	v_add_f32_e64 v52, v52, 1.0                                // 0000000093F4: D1010034 0001E534
	v_add_f32_e64 v53, v53, 1.0                                // 0000000093FC: D1010035 0001E535
	v_rcp_f32_e32 v50, v50                                     // 000000009404: 7E644532
	v_rcp_f32_e32 v51, v51                                     // 000000009408: 7E664533
	v_rcp_f32_e32 v52, v52                                     // 00000000940C: 7E684534
	v_rcp_f32_e32 v53, v53                                     // 000000009410: 7E6A4535
	v_mul_f32_e32 v172, v172, v50                              // 000000009414: 0B5865AC
	v_mul_f32_e32 v173, v173, v51                              // 000000009418: 0B5A67AD
	v_mul_f32_e32 v174, v174, v52                              // 00000000941C: 0B5C69AE
	v_mul_f32_e32 v175, v175, v53                              // 000000009420: 0B5E6BAF
	v_mul_f32_e32 v172, v172, v108                             // 000000009424: 0B58D9AC
	v_mul_f32_e32 v173, v173, v109                             // 000000009428: 0B5ADBAD
	v_mul_f32_e32 v174, v174, v110                             // 00000000942C: 0B5CDDAE
	v_mul_f32_e32 v175, v175, v111                             // 000000009430: 0B5EDFAF
	v_lshlrev_b32_e32 v50, 2, v0                               // 000000009434: 24640082
	s_mul_i32 s60, s82, s71                                    // 000000009438: 923C4752
	v_add_u32_e64 v80, v50, s60                                // 00000000943C: D1340050 00007932
	v_mov_b32_e32 v81, 0                                       // 000000009444: 7EA20280
	s_mul_i32 s60, s83, s71                                    // 000000009448: 923C4753
	v_add_u32_e64 v82, v50, s60                                // 00000000944C: D1340052 00007932
	v_mov_b32_e32 v83, 0                                       // 000000009454: 7EA60280
	s_mul_i32 s60, s84, s71                                    // 000000009458: 923C4754
	v_add_u32_e64 v84, v50, s60                                // 00000000945C: D1340054 00007932
	v_mov_b32_e32 v85, 0                                       // 000000009464: 7EAA0280
	s_mul_i32 s60, s85, s71                                    // 000000009468: 923C4755
	v_add_u32_e64 v86, v50, s60                                // 00000000946C: D1340056 00007932
	v_mov_b32_e32 v87, 0                                       // 000000009474: 7EAE0280
	s_mul_i32 s60, s86, s71                                    // 000000009478: 923C4756
	v_add_u32_e64 v88, v50, s60                                // 00000000947C: D1340058 00007932
	v_mov_b32_e32 v89, 0                                       // 000000009484: 7EB20280
	s_mul_i32 s60, s87, s71                                    // 000000009488: 923C4757
	v_add_u32_e64 v90, v50, s60                                // 00000000948C: D134005A 00007932
	v_mov_b32_e32 v91, 0                                       // 000000009494: 7EB60280
	s_mul_i32 s60, s88, s71                                    // 000000009498: 923C4758
	v_add_u32_e64 v92, v50, s60                                // 00000000949C: D134005C 00007932
	v_mov_b32_e32 v93, 0                                       // 0000000094A4: 7EBA0280
	s_mul_i32 s60, s89, s71                                    // 0000000094A8: 923C4759
	v_add_u32_e64 v94, v50, s60                                // 0000000094AC: D134005E 00007932
	v_mov_b32_e32 v95, 0                                       // 0000000094B4: 7EBE0280
	buffer_load_dword v12, v5, s[16:19], 0 offen               // 0000000094B8: E0501000 80040C05
	v_mov_b32_e32 v22, 0x358637bd                              // 0000000094C0: 7E2C02FF 358637BD
	v_mov_b32_e32 v23, 0x358637bd                              // 0000000094C8: 7E2E02FF 358637BD
	v_max3_f32 v22, |v128|, |v129|, v22                        // 0000000094D0: D1D30316 045B0380
	v_max3_f32 v22, |v130|, |v131|, v22                        // 0000000094D8: D1D30316 045B0782
	v_max3_f32 v23, |v132|, |v133|, v23                        // 0000000094E0: D1D30317 045F0B84
	v_max3_f32 v23, |v134|, |v135|, v23                        // 0000000094E8: D1D30317 045F0F86
	v_max3_f32 v22, |v136|, |v137|, v22                        // 0000000094F0: D1D30316 045B1388
	v_max3_f32 v22, |v138|, |v139|, v22                        // 0000000094F8: D1D30316 045B178A
	v_max3_f32 v23, |v140|, |v141|, v23                        // 000000009500: D1D30317 045F1B8C
	v_max3_f32 v23, |v142|, |v143|, v23                        // 000000009508: D1D30317 045F1F8E
	v_max3_f32 v22, |v144|, |v145|, v22                        // 000000009510: D1D30316 045B2390
	v_max3_f32 v22, |v146|, |v147|, v22                        // 000000009518: D1D30316 045B2792
	v_max3_f32 v23, |v148|, |v149|, v23                        // 000000009520: D1D30317 045F2B94
	v_max3_f32 v23, |v150|, |v151|, v23                        // 000000009528: D1D30317 045F2F96
	v_max3_f32 v22, |v152|, |v153|, v22                        // 000000009530: D1D30316 045B3398
	v_max3_f32 v22, |v154|, |v155|, v22                        // 000000009538: D1D30316 045B379A
	v_max3_f32 v23, |v156|, |v157|, v23                        // 000000009540: D1D30317 045F3B9C
	v_max3_f32 v23, |v158|, |v159|, v23                        // 000000009548: D1D30317 045F3F9E
	v_max3_f32 v22, |v160|, |v161|, v22                        // 000000009550: D1D30316 045B43A0
	v_max3_f32 v22, |v162|, |v163|, v22                        // 000000009558: D1D30316 045B47A2
	v_max3_f32 v23, |v164|, |v165|, v23                        // 000000009560: D1D30317 045F4BA4
	v_max3_f32 v23, |v166|, |v167|, v23                        // 000000009568: D1D30317 045F4FA6
	v_max3_f32 v22, |v168|, |v169|, v22                        // 000000009570: D1D30316 045B53A8
	v_max3_f32 v22, |v170|, |v171|, v22                        // 000000009578: D1D30316 045B57AA
	v_max3_f32 v23, |v172|, |v173|, v23                        // 000000009580: D1D30317 045F5BAC
	v_max3_f32 v23, |v174|, |v175|, v23                        // 000000009588: D1D30317 045F5FAE
	v_lshlrev_b32_e32 v50, 3, v0                               // 000000009590: 24640083
	s_mul_i32 s60, 0x200, s7                                   // 000000009594: 923C07FF 00000200
	v_add_u32_e32 v50, s60, v50                                // 00000000959C: 6864643C
	ds_write_b64 v50, v[22:23] offset:16640                    // 0000000095A0: D89A4100 00001632
	s_waitcnt lgkmcnt(0)                                       // 0000000095A8: BF8CC07F
	s_barrier                                                  // 0000000095AC: BF8A0000
	v_and_b32_e32 v50, 15, v0                                  // 0000000095B0: 2664008F
	v_lshlrev_b32_e32 v50, 3, v50                              // 0000000095B4: 24646483
	ds_read_b64 v[96:97], v50 offset:16640                     // 0000000095B8: D8EC4100 60000032
	ds_read_b64 v[98:99], v50 offset:16768                     // 0000000095C0: D8EC4180 62000032
	ds_read_b64 v[100:101], v50 offset:16896                   // 0000000095C8: D8EC4200 64000032
	ds_read_b64 v[102:103], v50 offset:17024                   // 0000000095D0: D8EC4280 66000032
	ds_read_b64 v[104:105], v50 offset:17152                   // 0000000095D8: D8EC4300 68000032
	ds_read_b64 v[106:107], v50 offset:17280                   // 0000000095E0: D8EC4380 6A000032
	ds_read_b64 v[108:109], v50 offset:17408                   // 0000000095E8: D8EC4400 6C000032
	ds_read_b64 v[110:111], v50 offset:17536                   // 0000000095F0: D8EC4480 6E000032
	ds_read_b64 v[112:113], v50 offset:17664                   // 0000000095F8: D8EC4500 70000032
	ds_read_b64 v[114:115], v50 offset:17792                   // 000000009600: D8EC4580 72000032
	ds_read_b64 v[116:117], v50 offset:17920                   // 000000009608: D8EC4600 74000032
	ds_read_b64 v[118:119], v50 offset:18048                   // 000000009610: D8EC4680 76000032
	ds_read_b64 v[120:121], v50 offset:18176                   // 000000009618: D8EC4700 78000032
	ds_read_b64 v[122:123], v50 offset:18304                   // 000000009620: D8EC4780 7A000032
	ds_read_b64 v[124:125], v50 offset:18432                   // 000000009628: D8EC4800 7C000032
	ds_read_b64 v[126:127], v50 offset:18560                   // 000000009630: D8EC4880 7E000032
	s_waitcnt lgkmcnt(0)                                       // 000000009638: BF8CC07F
	v_max3_f32 v22, |v96|, |v98|, v22                          // 00000000963C: D1D30316 045AC560
	v_max3_f32 v23, |v97|, |v99|, v23                          // 000000009644: D1D30317 045EC761
	v_max3_f32 v22, |v100|, |v102|, v22                        // 00000000964C: D1D30316 045ACD64
	v_max3_f32 v23, |v101|, |v103|, v23                        // 000000009654: D1D30317 045ECF65
	v_max3_f32 v22, |v104|, |v106|, v22                        // 00000000965C: D1D30316 045AD568
	v_max3_f32 v23, |v105|, |v107|, v23                        // 000000009664: D1D30317 045ED769
	v_max3_f32 v22, |v108|, |v110|, v22                        // 00000000966C: D1D30316 045ADD6C
	v_max3_f32 v23, |v109|, |v111|, v23                        // 000000009674: D1D30317 045EDF6D
	v_max3_f32 v22, |v112|, |v114|, v22                        // 00000000967C: D1D30316 045AE570
	v_max3_f32 v23, |v113|, |v115|, v23                        // 000000009684: D1D30317 045EE771
	v_max3_f32 v22, |v116|, |v118|, v22                        // 00000000968C: D1D30316 045AED74
	v_max3_f32 v23, |v117|, |v119|, v23                        // 000000009694: D1D30317 045EEF75
	v_max3_f32 v22, |v120|, |v122|, v22                        // 00000000969C: D1D30316 045AF578
	v_max3_f32 v23, |v121|, |v123|, v23                        // 0000000096A4: D1D30317 045EF779
	v_max3_f32 v22, |v124|, |v126|, v22                        // 0000000096AC: D1D30316 045AFD7C
	v_max3_f32 v23, |v125|, |v127|, v23                        // 0000000096B4: D1D30317 045EFF7D
	v_rcp_f32_e32 v22, v22                                     // 0000000096BC: 7E2C4516
	v_rcp_f32_e32 v23, v23                                     // 0000000096C0: 7E2E4517
	v_mul_f32_e32 v22, 0x42fe0000, v22                         // 0000000096C4: 0A2C2CFF 42FE0000
	v_mul_f32_e32 v23, 0x42fe0000, v23                         // 0000000096CC: 0A2E2EFF 42FE0000
	v_mul_f32_e32 v128, v22, v128                              // 0000000096D4: 0B010116
	v_mul_f32_e32 v129, v22, v129                              // 0000000096D8: 0B030316
	v_mul_f32_e32 v130, v22, v130                              // 0000000096DC: 0B050516
	v_mul_f32_e32 v131, v22, v131                              // 0000000096E0: 0B070716
	v_cvt_i32_f32_e32 v128, v128                               // 0000000096E4: 7F001180
	v_cvt_i32_f32_e32 v129, v129                               // 0000000096E8: 7F021181
	v_cvt_i32_f32_e32 v130, v130                               // 0000000096EC: 7F041182
	v_cvt_i32_f32_e32 v131, v131                               // 0000000096F0: 7F061183
	v_perm_b32 v128, v129, v128, s53                           // 0000000096F4: D1ED0080 00D70181
	v_perm_b32 v128, v130, v128, s54                           // 0000000096FC: D1ED0080 00DB0182
	v_perm_b32 v128, v131, v128, s55                           // 000000009704: D1ED0080 00DF0183
	v_mul_f32_e32 v132, v23, v132                              // 00000000970C: 0B090917
	v_mul_f32_e32 v133, v23, v133                              // 000000009710: 0B0B0B17
	v_mul_f32_e32 v134, v23, v134                              // 000000009714: 0B0D0D17
	v_mul_f32_e32 v135, v23, v135                              // 000000009718: 0B0F0F17
	v_cvt_i32_f32_e32 v132, v132                               // 00000000971C: 7F081184
	v_cvt_i32_f32_e32 v133, v133                               // 000000009720: 7F0A1185
	v_cvt_i32_f32_e32 v134, v134                               // 000000009724: 7F0C1186
	v_cvt_i32_f32_e32 v135, v135                               // 000000009728: 7F0E1187
	v_perm_b32 v129, v133, v132, s53                           // 00000000972C: D1ED0081 00D70985
	v_perm_b32 v129, v134, v129, s54                           // 000000009734: D1ED0081 00DB0386
	v_perm_b32 v129, v135, v129, s55                           // 00000000973C: D1ED0081 00DF0387
	v_mul_f32_e32 v136, v22, v136                              // 000000009744: 0B111116
	v_mul_f32_e32 v137, v22, v137                              // 000000009748: 0B131316
	v_mul_f32_e32 v138, v22, v138                              // 00000000974C: 0B151516
	v_mul_f32_e32 v139, v22, v139                              // 000000009750: 0B171716
	v_cvt_i32_f32_e32 v136, v136                               // 000000009754: 7F101188
	v_cvt_i32_f32_e32 v137, v137                               // 000000009758: 7F121189
	v_cvt_i32_f32_e32 v138, v138                               // 00000000975C: 7F14118A
	v_cvt_i32_f32_e32 v139, v139                               // 000000009760: 7F16118B
	v_perm_b32 v130, v137, v136, s53                           // 000000009764: D1ED0082 00D71189
	v_perm_b32 v130, v138, v130, s54                           // 00000000976C: D1ED0082 00DB058A
	v_perm_b32 v130, v139, v130, s55                           // 000000009774: D1ED0082 00DF058B
	v_mul_f32_e32 v140, v23, v140                              // 00000000977C: 0B191917
	v_mul_f32_e32 v141, v23, v141                              // 000000009780: 0B1B1B17
	v_mul_f32_e32 v142, v23, v142                              // 000000009784: 0B1D1D17
	v_mul_f32_e32 v143, v23, v143                              // 000000009788: 0B1F1F17
	v_cvt_i32_f32_e32 v140, v140                               // 00000000978C: 7F18118C
	v_cvt_i32_f32_e32 v141, v141                               // 000000009790: 7F1A118D
	v_cvt_i32_f32_e32 v142, v142                               // 000000009794: 7F1C118E
	v_cvt_i32_f32_e32 v143, v143                               // 000000009798: 7F1E118F
	v_perm_b32 v131, v141, v140, s53                           // 00000000979C: D1ED0083 00D7198D
	v_perm_b32 v131, v142, v131, s54                           // 0000000097A4: D1ED0083 00DB078E
	v_perm_b32 v131, v143, v131, s55                           // 0000000097AC: D1ED0083 00DF078F
	v_mul_f32_e32 v144, v22, v144                              // 0000000097B4: 0B212116
	v_mul_f32_e32 v145, v22, v145                              // 0000000097B8: 0B232316
	v_mul_f32_e32 v146, v22, v146                              // 0000000097BC: 0B252516
	v_mul_f32_e32 v147, v22, v147                              // 0000000097C0: 0B272716
	v_cvt_i32_f32_e32 v144, v144                               // 0000000097C4: 7F201190
	v_cvt_i32_f32_e32 v145, v145                               // 0000000097C8: 7F221191
	v_cvt_i32_f32_e32 v146, v146                               // 0000000097CC: 7F241192
	v_cvt_i32_f32_e32 v147, v147                               // 0000000097D0: 7F261193
	v_perm_b32 v132, v145, v144, s53                           // 0000000097D4: D1ED0084 00D72191
	v_perm_b32 v132, v146, v132, s54                           // 0000000097DC: D1ED0084 00DB0992
	v_perm_b32 v132, v147, v132, s55                           // 0000000097E4: D1ED0084 00DF0993
	v_mul_f32_e32 v148, v23, v148                              // 0000000097EC: 0B292917
	v_mul_f32_e32 v149, v23, v149                              // 0000000097F0: 0B2B2B17
	v_mul_f32_e32 v150, v23, v150                              // 0000000097F4: 0B2D2D17
	v_mul_f32_e32 v151, v23, v151                              // 0000000097F8: 0B2F2F17
	v_cvt_i32_f32_e32 v148, v148                               // 0000000097FC: 7F281194
	v_cvt_i32_f32_e32 v149, v149                               // 000000009800: 7F2A1195
	v_cvt_i32_f32_e32 v150, v150                               // 000000009804: 7F2C1196
	v_cvt_i32_f32_e32 v151, v151                               // 000000009808: 7F2E1197
	v_perm_b32 v133, v149, v148, s53                           // 00000000980C: D1ED0085 00D72995
	v_perm_b32 v133, v150, v133, s54                           // 000000009814: D1ED0085 00DB0B96
	v_perm_b32 v133, v151, v133, s55                           // 00000000981C: D1ED0085 00DF0B97
	v_mul_f32_e32 v152, v22, v152                              // 000000009824: 0B313116
	v_mul_f32_e32 v153, v22, v153                              // 000000009828: 0B333316
	v_mul_f32_e32 v154, v22, v154                              // 00000000982C: 0B353516
	v_mul_f32_e32 v155, v22, v155                              // 000000009830: 0B373716
	v_cvt_i32_f32_e32 v152, v152                               // 000000009834: 7F301198
	v_cvt_i32_f32_e32 v153, v153                               // 000000009838: 7F321199
	v_cvt_i32_f32_e32 v154, v154                               // 00000000983C: 7F34119A
	v_cvt_i32_f32_e32 v155, v155                               // 000000009840: 7F36119B
	v_perm_b32 v134, v153, v152, s53                           // 000000009844: D1ED0086 00D73199
	v_perm_b32 v134, v154, v134, s54                           // 00000000984C: D1ED0086 00DB0D9A
	v_perm_b32 v134, v155, v134, s55                           // 000000009854: D1ED0086 00DF0D9B
	v_mul_f32_e32 v156, v23, v156                              // 00000000985C: 0B393917
	v_mul_f32_e32 v157, v23, v157                              // 000000009860: 0B3B3B17
	v_mul_f32_e32 v158, v23, v158                              // 000000009864: 0B3D3D17
	v_mul_f32_e32 v159, v23, v159                              // 000000009868: 0B3F3F17
	v_cvt_i32_f32_e32 v156, v156                               // 00000000986C: 7F38119C
	v_cvt_i32_f32_e32 v157, v157                               // 000000009870: 7F3A119D
	v_cvt_i32_f32_e32 v158, v158                               // 000000009874: 7F3C119E
	v_cvt_i32_f32_e32 v159, v159                               // 000000009878: 7F3E119F
	v_perm_b32 v135, v157, v156, s53                           // 00000000987C: D1ED0087 00D7399D
	v_perm_b32 v135, v158, v135, s54                           // 000000009884: D1ED0087 00DB0F9E
	v_perm_b32 v135, v159, v135, s55                           // 00000000988C: D1ED0087 00DF0F9F
	v_mul_f32_e32 v160, v22, v160                              // 000000009894: 0B414116
	v_mul_f32_e32 v161, v22, v161                              // 000000009898: 0B434316
	v_mul_f32_e32 v162, v22, v162                              // 00000000989C: 0B454516
	v_mul_f32_e32 v163, v22, v163                              // 0000000098A0: 0B474716
	v_cvt_i32_f32_e32 v160, v160                               // 0000000098A4: 7F4011A0
	v_cvt_i32_f32_e32 v161, v161                               // 0000000098A8: 7F4211A1
	v_cvt_i32_f32_e32 v162, v162                               // 0000000098AC: 7F4411A2
	v_cvt_i32_f32_e32 v163, v163                               // 0000000098B0: 7F4611A3
	v_perm_b32 v136, v161, v160, s53                           // 0000000098B4: D1ED0088 00D741A1
	v_perm_b32 v136, v162, v136, s54                           // 0000000098BC: D1ED0088 00DB11A2
	v_perm_b32 v136, v163, v136, s55                           // 0000000098C4: D1ED0088 00DF11A3
	v_mul_f32_e32 v164, v23, v164                              // 0000000098CC: 0B494917
	v_mul_f32_e32 v165, v23, v165                              // 0000000098D0: 0B4B4B17
	v_mul_f32_e32 v166, v23, v166                              // 0000000098D4: 0B4D4D17
	v_mul_f32_e32 v167, v23, v167                              // 0000000098D8: 0B4F4F17
	v_cvt_i32_f32_e32 v164, v164                               // 0000000098DC: 7F4811A4
	v_cvt_i32_f32_e32 v165, v165                               // 0000000098E0: 7F4A11A5
	v_cvt_i32_f32_e32 v166, v166                               // 0000000098E4: 7F4C11A6
	v_cvt_i32_f32_e32 v167, v167                               // 0000000098E8: 7F4E11A7
	v_perm_b32 v137, v165, v164, s53                           // 0000000098EC: D1ED0089 00D749A5
	v_perm_b32 v137, v166, v137, s54                           // 0000000098F4: D1ED0089 00DB13A6
	v_perm_b32 v137, v167, v137, s55                           // 0000000098FC: D1ED0089 00DF13A7
	v_mul_f32_e32 v168, v22, v168                              // 000000009904: 0B515116
	v_mul_f32_e32 v169, v22, v169                              // 000000009908: 0B535316
	v_mul_f32_e32 v170, v22, v170                              // 00000000990C: 0B555516
	v_mul_f32_e32 v171, v22, v171                              // 000000009910: 0B575716
	v_cvt_i32_f32_e32 v168, v168                               // 000000009914: 7F5011A8
	v_cvt_i32_f32_e32 v169, v169                               // 000000009918: 7F5211A9
	v_cvt_i32_f32_e32 v170, v170                               // 00000000991C: 7F5411AA
	v_cvt_i32_f32_e32 v171, v171                               // 000000009920: 7F5611AB
	v_perm_b32 v138, v169, v168, s53                           // 000000009924: D1ED008A 00D751A9
	v_perm_b32 v138, v170, v138, s54                           // 00000000992C: D1ED008A 00DB15AA
	v_perm_b32 v138, v171, v138, s55                           // 000000009934: D1ED008A 00DF15AB
	v_mul_f32_e32 v172, v23, v172                              // 00000000993C: 0B595917
	v_mul_f32_e32 v173, v23, v173                              // 000000009940: 0B5B5B17
	v_mul_f32_e32 v174, v23, v174                              // 000000009944: 0B5D5D17
	v_mul_f32_e32 v175, v23, v175                              // 000000009948: 0B5F5F17
	v_cvt_i32_f32_e32 v172, v172                               // 00000000994C: 7F5811AC
	v_cvt_i32_f32_e32 v173, v173                               // 000000009950: 7F5A11AD
	v_cvt_i32_f32_e32 v174, v174                               // 000000009954: 7F5C11AE
	v_cvt_i32_f32_e32 v175, v175                               // 000000009958: 7F5E11AF
	v_perm_b32 v139, v173, v172, s53                           // 00000000995C: D1ED008B 00D759AD
	v_perm_b32 v139, v174, v139, s54                           // 000000009964: D1ED008B 00DB17AE
	v_perm_b32 v139, v175, v139, s55                           // 00000000996C: D1ED008B 00DF17AF
	v_rcp_f32_e32 v24, v22                                     // 000000009974: 7E304516
	v_rcp_f32_e32 v25, v23                                     // 000000009978: 7E324517
	v_lshrrev_b32_e32 v50, 5, v0                               // 00000000997C: 20640085
	v_lshlrev_b32_e32 v51, 5, v50                              // 000000009980: 24666485
	v_and_b32_e32 v50, 31, v0                                  // 000000009984: 2664009F
	v_lshrrev_b32_e32 v52, 4, v50                              // 000000009988: 20686484
	v_add_u32_e32 v51, v52, v51                                // 00000000998C: 68666734
	v_and_b32_e32 v50, 15, v0                                  // 000000009990: 2664008F
	v_lshlrev_b32_e32 v50, 1, v50                              // 000000009994: 24646481
	v_add_u32_e32 v51, v50, v51                                // 000000009998: 68666732
	v_lshlrev_b32_e32 v50, 2, v51                              // 00000000999C: 24646682
	s_mul_i32 s60, 0x100, s7                                   // 0000000099A0: 923C07FF 00000100
	v_add_u32_e64 v50, v50, s60                                // 0000000099A8: D1340032 00007932
	ds_write_b32 v50, v128 offset:18688                        // 0000000099B0: D81A4900 00008032
	ds_write_b32 v50, v129 offset:24832                        // 0000000099B8: D81A6100 00008132
	ds_write_b32 v50, v130 offset:19712                        // 0000000099C0: D81A4D00 00008232
	ds_write_b32 v50, v131 offset:25856                        // 0000000099C8: D81A6500 00008332
	ds_write_b32 v50, v132 offset:20736                        // 0000000099D0: D81A5100 00008432
	ds_write_b32 v50, v133 offset:26880                        // 0000000099D8: D81A6900 00008532
	ds_write_b32 v50, v134 offset:21760                        // 0000000099E0: D81A5500 00008632
	ds_write_b32 v50, v135 offset:27904                        // 0000000099E8: D81A6D00 00008732
	ds_write_b32 v50, v136 offset:22784                        // 0000000099F0: D81A5900 00008832
	ds_write_b32 v50, v137 offset:28928                        // 0000000099F8: D81A7100 00008932
	ds_write_b32 v50, v138 offset:23808                        // 000000009A00: D81A5D00 00008A32
	ds_write_b32 v50, v139 offset:29952                        // 000000009A08: D81A7500 00008B32
	s_waitcnt lgkmcnt(0)                                       // 000000009A10: BF8CC07F
	s_barrier                                                  // 000000009A14: BF8A0000
	v_lshrrev_b32_e32 v50, 4, v0                               // 000000009A18: 20640084
	v_lshlrev_b32_e32 v51, 6, v50                              // 000000009A1C: 24666486
	v_and_b32_e32 v50, 15, v0                                  // 000000009A20: 2664008F
	v_lshlrev_b32_e32 v50, 1, v50                              // 000000009A24: 24646481
	v_add_u32_e32 v51, v50, v51                                // 000000009A28: 68666732
	v_lshlrev_b32_e32 v50, 2, v51                              // 000000009A2C: 24646682
	ds_read_b64 v[128:129], v50 offset:18688                   // 000000009A30: D8EC4900 80000032
	ds_read_b64 v[130:131], v50 offset:18816                   // 000000009A38: D8EC4980 82000032
	ds_read_b64 v[132:133], v50 offset:19712                   // 000000009A40: D8EC4D00 84000032
	ds_read_b64 v[134:135], v50 offset:19840                   // 000000009A48: D8EC4D80 86000032
	ds_read_b64 v[136:137], v50 offset:20736                   // 000000009A50: D8EC5100 88000032
	ds_read_b64 v[138:139], v50 offset:20864                   // 000000009A58: D8EC5180 8A000032
	ds_read_b64 v[140:141], v50 offset:21760                   // 000000009A60: D8EC5500 8C000032
	ds_read_b64 v[142:143], v50 offset:21888                   // 000000009A68: D8EC5580 8E000032
	ds_read_b64 v[144:145], v50 offset:22784                   // 000000009A70: D8EC5900 90000032
	ds_read_b64 v[146:147], v50 offset:22912                   // 000000009A78: D8EC5980 92000032
	ds_read_b64 v[148:149], v50 offset:23808                   // 000000009A80: D8EC5D00 94000032
	ds_read_b64 v[150:151], v50 offset:23936                   // 000000009A88: D8EC5D80 96000032
	ds_read_b64 v[152:153], v50 offset:24832                   // 000000009A90: D8EC6100 98000032
	ds_read_b64 v[154:155], v50 offset:24960                   // 000000009A98: D8EC6180 9A000032
	ds_read_b64 v[156:157], v50 offset:25856                   // 000000009AA0: D8EC6500 9C000032
	ds_read_b64 v[158:159], v50 offset:25984                   // 000000009AA8: D8EC6580 9E000032
	ds_read_b64 v[160:161], v50 offset:26880                   // 000000009AB0: D8EC6900 A0000032
	ds_read_b64 v[162:163], v50 offset:27008                   // 000000009AB8: D8EC6980 A2000032
	ds_read_b64 v[164:165], v50 offset:27904                   // 000000009AC0: D8EC6D00 A4000032
	ds_read_b64 v[166:167], v50 offset:28032                   // 000000009AC8: D8EC6D80 A6000032
	ds_read_b64 v[168:169], v50 offset:28928                   // 000000009AD0: D8EC7100 A8000032
	ds_read_b64 v[170:171], v50 offset:29056                   // 000000009AD8: D8EC7180 AA000032
	ds_read_b64 v[172:173], v50 offset:29952                   // 000000009AE0: D8EC7500 AC000032
	ds_read_b64 v[174:175], v50 offset:30080                   // 000000009AE8: D8EC7580 AE000032
	s_add_u32 s12, s56, s12                                    // 000000009AF0: 800C0C38
	s_addc_u32 s13, 0, s13                                     // 000000009AF4: 820D0D80
	s_add_u32 s16, s79, s16                                    // 000000009AF8: 8010104F
	s_addc_u32 s17, 0, s17                                     // 000000009AFC: 82111180
	s_mov_b32 s80, 0                                           // 000000009B00: BED00080
	s_waitcnt vmcnt(0) expcnt(0) lgkmcnt(0)                    // 000000009B04: BF8C0000

0000000000009b08 <label_1B42>:
	s_waitcnt vmcnt(37)                                        // 000000009B08: BF8C8F75
	s_barrier                                                  // 000000009B0C: BF8A0000
	v_mfma_i32_16x16x32_i8 v[176:179], a[0:1], v[128:129], 0   // 000000009B10: D3D700B0 0A030100
	buffer_load_dwordx4 a[96:99], v40, s[12:15], 0 offen       // 000000009B18: E05C1000 80836028
	v_mfma_i32_16x16x32_i8 v[176:179], a[2:3], v[130:131], v[176:179]// 000000009B20: D3D700B0 0EC30502
	v_mfma_i32_16x16x32_i8 v[180:183], a[0:1], v[152:153], 0   // 000000009B28: D3D700B4 0A033100
	v_mfma_i32_16x16x32_i8 v[180:183], a[2:3], v[154:155], v[180:183]// 000000009B30: D3D700B4 0ED33502
	v_mfma_i32_16x16x32_i8 v[184:187], a[4:5], v[128:129], 0   // 000000009B38: D3D700B8 0A030104
	buffer_load_dwordx4 a[100:103], v41, s[12:15], 0 offen     // 000000009B40: E05C1000 80836429
	v_mfma_i32_16x16x32_i8 v[184:187], a[6:7], v[130:131], v[184:187]// 000000009B48: D3D700B8 0EE30506
	v_mfma_i32_16x16x32_i8 v[188:191], a[4:5], v[152:153], 0   // 000000009B50: D3D700BC 0A033104
	v_mfma_i32_16x16x32_i8 v[188:191], a[6:7], v[154:155], v[188:191]// 000000009B58: D3D700BC 0EF33506
	v_mfma_i32_16x16x32_i8 v[192:195], a[8:9], v[128:129], 0   // 000000009B60: D3D700C0 0A030108
	buffer_load_dwordx4 a[104:107], v42, s[12:15], 0 offen     // 000000009B68: E05C1000 8083682A
	v_mfma_i32_16x16x32_i8 v[192:195], a[10:11], v[130:131], v[192:195]// 000000009B70: D3D700C0 0F03050A
	v_mfma_i32_16x16x32_i8 v[196:199], a[8:9], v[152:153], 0   // 000000009B78: D3D700C4 0A033108
	v_mfma_i32_16x16x32_i8 v[196:199], a[10:11], v[154:155], v[196:199]// 000000009B80: D3D700C4 0F13350A
	v_mfma_i32_16x16x32_i8 v[200:203], a[12:13], v[128:129], 0 // 000000009B88: D3D700C8 0A03010C
	buffer_load_dwordx4 a[108:111], v43, s[12:15], 0 offen     // 000000009B90: E05C1000 80836C2B
	s_add_u32 s12, s78, s12                                    // 000000009B98: 800C0C4E
	s_addc_u32 s13, 0, s13                                     // 000000009B9C: 820D0D80
	v_mfma_i32_16x16x32_i8 v[200:203], a[14:15], v[130:131], v[200:203]// 000000009BA0: D3D700C8 0F23050E
	v_mfma_i32_16x16x32_i8 v[204:207], a[12:13], v[152:153], 0 // 000000009BA8: D3D700CC 0A03310C
	v_mfma_i32_16x16x32_i8 v[204:207], a[14:15], v[154:155], v[204:207]// 000000009BB0: D3D700CC 0F33350E
	s_waitcnt vmcnt(37)                                        // 000000009BB8: BF8C8F75
	v_mfma_i32_16x16x32_i8 v[176:179], a[16:17], v[132:133], v[176:179]// 000000009BBC: D3D700B0 0EC30910
	buffer_load_dwordx4 a[112:115], v40, s[12:15], 0 offen     // 000000009BC4: E05C1000 80837028
	v_mfma_i32_16x16x32_i8 v[176:179], a[18:19], v[134:135], v[176:179]// 000000009BCC: D3D700B0 0EC30D12
	v_mfma_i32_16x16x32_i8 v[180:183], a[16:17], v[156:157], v[180:183]// 000000009BD4: D3D700B4 0ED33910
	v_mfma_i32_16x16x32_i8 v[180:183], a[18:19], v[158:159], v[180:183]// 000000009BDC: D3D700B4 0ED33D12
	v_mfma_i32_16x16x32_i8 v[184:187], a[20:21], v[132:133], v[184:187]// 000000009BE4: D3D700B8 0EE30914
	buffer_load_dwordx4 a[116:119], v41, s[12:15], 0 offen     // 000000009BEC: E05C1000 80837429
	v_mfma_i32_16x16x32_i8 v[184:187], a[22:23], v[134:135], v[184:187]// 000000009BF4: D3D700B8 0EE30D16
	v_mfma_i32_16x16x32_i8 v[188:191], a[20:21], v[156:157], v[188:191]// 000000009BFC: D3D700BC 0EF33914
	v_mfma_i32_16x16x32_i8 v[188:191], a[22:23], v[158:159], v[188:191]// 000000009C04: D3D700BC 0EF33D16
	v_mfma_i32_16x16x32_i8 v[192:195], a[24:25], v[132:133], v[192:195]// 000000009C0C: D3D700C0 0F030918
	buffer_load_dwordx4 a[120:123], v42, s[12:15], 0 offen     // 000000009C14: E05C1000 8083782A
	v_mfma_i32_16x16x32_i8 v[192:195], a[26:27], v[134:135], v[192:195]// 000000009C1C: D3D700C0 0F030D1A
	v_mfma_i32_16x16x32_i8 v[196:199], a[24:25], v[156:157], v[196:199]// 000000009C24: D3D700C4 0F133918
	v_mfma_i32_16x16x32_i8 v[196:199], a[26:27], v[158:159], v[196:199]// 000000009C2C: D3D700C4 0F133D1A
	v_mfma_i32_16x16x32_i8 v[200:203], a[28:29], v[132:133], v[200:203]// 000000009C34: D3D700C8 0F23091C
	buffer_load_dwordx4 a[124:127], v43, s[12:15], 0 offen     // 000000009C3C: E05C1000 80837C2B
	s_add_u32 s12, s78, s12                                    // 000000009C44: 800C0C4E
	s_addc_u32 s13, 0, s13                                     // 000000009C48: 820D0D80
	v_mfma_i32_16x16x32_i8 v[200:203], a[30:31], v[134:135], v[200:203]// 000000009C4C: D3D700C8 0F230D1E
	v_mfma_i32_16x16x32_i8 v[204:207], a[28:29], v[156:157], v[204:207]// 000000009C54: D3D700CC 0F33391C
	v_mfma_i32_16x16x32_i8 v[204:207], a[30:31], v[158:159], v[204:207]// 000000009C5C: D3D700CC 0F333D1E
	s_waitcnt vmcnt(37)                                        // 000000009C64: BF8C8F75
	v_mfma_i32_16x16x32_i8 v[176:179], a[32:33], v[136:137], v[176:179]// 000000009C68: D3D700B0 0EC31120
	buffer_load_dwordx4 a[128:131], v40, s[12:15], 0 offen     // 000000009C70: E05C1000 80838028
	v_mfma_i32_16x16x32_i8 v[176:179], a[34:35], v[138:139], v[176:179]// 000000009C78: D3D700B0 0EC31522
	v_mfma_i32_16x16x32_i8 v[180:183], a[32:33], v[160:161], v[180:183]// 000000009C80: D3D700B4 0ED34120
	v_mfma_i32_16x16x32_i8 v[180:183], a[34:35], v[162:163], v[180:183]// 000000009C88: D3D700B4 0ED34522
	v_mfma_i32_16x16x32_i8 v[184:187], a[36:37], v[136:137], v[184:187]// 000000009C90: D3D700B8 0EE31124
	buffer_load_dwordx4 a[132:135], v41, s[12:15], 0 offen     // 000000009C98: E05C1000 80838429
	v_mfma_i32_16x16x32_i8 v[184:187], a[38:39], v[138:139], v[184:187]// 000000009CA0: D3D700B8 0EE31526
	v_mfma_i32_16x16x32_i8 v[188:191], a[36:37], v[160:161], v[188:191]// 000000009CA8: D3D700BC 0EF34124
	v_mfma_i32_16x16x32_i8 v[188:191], a[38:39], v[162:163], v[188:191]// 000000009CB0: D3D700BC 0EF34526
	v_mfma_i32_16x16x32_i8 v[192:195], a[40:41], v[136:137], v[192:195]// 000000009CB8: D3D700C0 0F031128
	buffer_load_dwordx4 a[136:139], v42, s[12:15], 0 offen     // 000000009CC0: E05C1000 8083882A
	v_mfma_i32_16x16x32_i8 v[192:195], a[42:43], v[138:139], v[192:195]// 000000009CC8: D3D700C0 0F03152A
	v_mfma_i32_16x16x32_i8 v[196:199], a[40:41], v[160:161], v[196:199]// 000000009CD0: D3D700C4 0F134128
	v_mfma_i32_16x16x32_i8 v[196:199], a[42:43], v[162:163], v[196:199]// 000000009CD8: D3D700C4 0F13452A
	v_mfma_i32_16x16x32_i8 v[200:203], a[44:45], v[136:137], v[200:203]// 000000009CE0: D3D700C8 0F23112C
	buffer_load_dwordx4 a[140:143], v43, s[12:15], 0 offen     // 000000009CE8: E05C1000 80838C2B
	s_add_u32 s12, s78, s12                                    // 000000009CF0: 800C0C4E
	s_addc_u32 s13, 0, s13                                     // 000000009CF4: 820D0D80
	v_mfma_i32_16x16x32_i8 v[200:203], a[46:47], v[138:139], v[200:203]// 000000009CF8: D3D700C8 0F23152E
	v_mfma_i32_16x16x32_i8 v[204:207], a[44:45], v[160:161], v[204:207]// 000000009D00: D3D700CC 0F33412C
	v_mfma_i32_16x16x32_i8 v[204:207], a[46:47], v[162:163], v[204:207]// 000000009D08: D3D700CC 0F33452E
	s_waitcnt vmcnt(37)                                        // 000000009D10: BF8C8F75
	v_mfma_i32_16x16x32_i8 v[176:179], a[48:49], v[140:141], v[176:179]// 000000009D14: D3D700B0 0EC31930
	buffer_load_dwordx4 a[144:147], v40, s[12:15], 0 offen     // 000000009D1C: E05C1000 80839028
	v_mfma_i32_16x16x32_i8 v[176:179], a[50:51], v[142:143], v[176:179]// 000000009D24: D3D700B0 0EC31D32
	v_mfma_i32_16x16x32_i8 v[180:183], a[48:49], v[164:165], v[180:183]// 000000009D2C: D3D700B4 0ED34930
	v_mfma_i32_16x16x32_i8 v[180:183], a[50:51], v[166:167], v[180:183]// 000000009D34: D3D700B4 0ED34D32
	v_mfma_i32_16x16x32_i8 v[184:187], a[52:53], v[140:141], v[184:187]// 000000009D3C: D3D700B8 0EE31934
	buffer_load_dwordx4 a[148:151], v41, s[12:15], 0 offen     // 000000009D44: E05C1000 80839429
	v_mfma_i32_16x16x32_i8 v[184:187], a[54:55], v[142:143], v[184:187]// 000000009D4C: D3D700B8 0EE31D36
	v_mfma_i32_16x16x32_i8 v[188:191], a[52:53], v[164:165], v[188:191]// 000000009D54: D3D700BC 0EF34934
	v_mfma_i32_16x16x32_i8 v[188:191], a[54:55], v[166:167], v[188:191]// 000000009D5C: D3D700BC 0EF34D36
	v_mfma_i32_16x16x32_i8 v[192:195], a[56:57], v[140:141], v[192:195]// 000000009D64: D3D700C0 0F031938
	buffer_load_dwordx4 a[152:155], v42, s[12:15], 0 offen     // 000000009D6C: E05C1000 8083982A
	v_mfma_i32_16x16x32_i8 v[192:195], a[58:59], v[142:143], v[192:195]// 000000009D74: D3D700C0 0F031D3A
	v_mfma_i32_16x16x32_i8 v[196:199], a[56:57], v[164:165], v[196:199]// 000000009D7C: D3D700C4 0F134938
	v_mfma_i32_16x16x32_i8 v[196:199], a[58:59], v[166:167], v[196:199]// 000000009D84: D3D700C4 0F134D3A
	v_mfma_i32_16x16x32_i8 v[200:203], a[60:61], v[140:141], v[200:203]// 000000009D8C: D3D700C8 0F23193C
	buffer_load_dwordx4 a[156:159], v43, s[12:15], 0 offen     // 000000009D94: E05C1000 80839C2B
	s_add_u32 s12, s78, s12                                    // 000000009D9C: 800C0C4E
	s_addc_u32 s13, 0, s13                                     // 000000009DA0: 820D0D80
	v_mfma_i32_16x16x32_i8 v[200:203], a[62:63], v[142:143], v[200:203]// 000000009DA4: D3D700C8 0F231D3E
	v_mfma_i32_16x16x32_i8 v[204:207], a[60:61], v[164:165], v[204:207]// 000000009DAC: D3D700CC 0F33493C
	v_mfma_i32_16x16x32_i8 v[204:207], a[62:63], v[166:167], v[204:207]// 000000009DB4: D3D700CC 0F334D3E
	s_waitcnt vmcnt(37)                                        // 000000009DBC: BF8C8F75
	v_mfma_i32_16x16x32_i8 v[176:179], a[64:65], v[144:145], v[176:179]// 000000009DC0: D3D700B0 0EC32140
	buffer_load_dwordx4 a[160:163], v40, s[12:15], 0 offen     // 000000009DC8: E05C1000 8083A028
	v_mfma_i32_16x16x32_i8 v[176:179], a[66:67], v[146:147], v[176:179]// 000000009DD0: D3D700B0 0EC32542
	v_mfma_i32_16x16x32_i8 v[180:183], a[64:65], v[168:169], v[180:183]// 000000009DD8: D3D700B4 0ED35140
	v_mfma_i32_16x16x32_i8 v[180:183], a[66:67], v[170:171], v[180:183]// 000000009DE0: D3D700B4 0ED35542
	v_mfma_i32_16x16x32_i8 v[184:187], a[68:69], v[144:145], v[184:187]// 000000009DE8: D3D700B8 0EE32144
	buffer_load_dwordx4 a[164:167], v41, s[12:15], 0 offen     // 000000009DF0: E05C1000 8083A429
	v_mfma_i32_16x16x32_i8 v[184:187], a[70:71], v[146:147], v[184:187]// 000000009DF8: D3D700B8 0EE32546
	v_mfma_i32_16x16x32_i8 v[188:191], a[68:69], v[168:169], v[188:191]// 000000009E00: D3D700BC 0EF35144
	v_mfma_i32_16x16x32_i8 v[188:191], a[70:71], v[170:171], v[188:191]// 000000009E08: D3D700BC 0EF35546
	v_mfma_i32_16x16x32_i8 v[192:195], a[72:73], v[144:145], v[192:195]// 000000009E10: D3D700C0 0F032148
	buffer_load_dwordx4 a[168:171], v42, s[12:15], 0 offen     // 000000009E18: E05C1000 8083A82A
	v_mfma_i32_16x16x32_i8 v[192:195], a[74:75], v[146:147], v[192:195]// 000000009E20: D3D700C0 0F03254A
	v_mfma_i32_16x16x32_i8 v[196:199], a[72:73], v[168:169], v[196:199]// 000000009E28: D3D700C4 0F135148
	v_mfma_i32_16x16x32_i8 v[196:199], a[74:75], v[170:171], v[196:199]// 000000009E30: D3D700C4 0F13554A
	v_mfma_i32_16x16x32_i8 v[200:203], a[76:77], v[144:145], v[200:203]// 000000009E38: D3D700C8 0F23214C
	buffer_load_dwordx4 a[172:175], v43, s[12:15], 0 offen     // 000000009E40: E05C1000 8083AC2B
	s_add_u32 s12, s78, s12                                    // 000000009E48: 800C0C4E
	s_addc_u32 s13, 0, s13                                     // 000000009E4C: 820D0D80
	v_mfma_i32_16x16x32_i8 v[200:203], a[78:79], v[146:147], v[200:203]// 000000009E50: D3D700C8 0F23254E
	v_mfma_i32_16x16x32_i8 v[204:207], a[76:77], v[168:169], v[204:207]// 000000009E58: D3D700CC 0F33514C
	v_mfma_i32_16x16x32_i8 v[204:207], a[78:79], v[170:171], v[204:207]// 000000009E60: D3D700CC 0F33554E
	s_waitcnt vmcnt(36)                                        // 000000009E68: BF8C8F74
	v_mfma_i32_16x16x32_i8 v[176:179], a[80:81], v[148:149], v[176:179]// 000000009E6C: D3D700B0 0EC32950
	buffer_load_dwordx4 a[176:179], v40, s[12:15], 0 offen     // 000000009E74: E05C1000 8083B028
	v_mfma_i32_16x16x32_i8 v[176:179], a[82:83], v[150:151], v[176:179]// 000000009E7C: D3D700B0 0EC32D52
	v_mfma_i32_16x16x32_i8 v[180:183], a[80:81], v[172:173], v[180:183]// 000000009E84: D3D700B4 0ED35950
	buffer_load_dword v13, v5, s[16:19], 0 offen               // 000000009E8C: E0501000 80040D05
	v_mfma_i32_16x16x32_i8 v[180:183], a[82:83], v[174:175], v[180:183]// 000000009E94: D3D700B4 0ED35D52
	v_mfma_i32_16x16x32_i8 v[184:187], a[84:85], v[148:149], v[184:187]// 000000009E9C: D3D700B8 0EE32954
	buffer_load_dwordx4 a[180:183], v41, s[12:15], 0 offen     // 000000009EA4: E05C1000 8083B429
	v_mfma_i32_16x16x32_i8 v[184:187], a[86:87], v[150:151], v[184:187]// 000000009EAC: D3D700B8 0EE32D56
	v_mfma_i32_16x16x32_i8 v[188:191], a[84:85], v[172:173], v[188:191]// 000000009EB4: D3D700BC 0EF35954
	v_mfma_i32_16x16x32_i8 v[188:191], a[86:87], v[174:175], v[188:191]// 000000009EBC: D3D700BC 0EF35D56
	v_mfma_i32_16x16x32_i8 v[192:195], a[88:89], v[148:149], v[192:195]// 000000009EC4: D3D700C0 0F032958
	buffer_load_dwordx4 a[184:187], v42, s[12:15], 0 offen     // 000000009ECC: E05C1000 8083B82A
	v_mfma_i32_16x16x32_i8 v[192:195], a[90:91], v[150:151], v[192:195]// 000000009ED4: D3D700C0 0F032D5A
	v_mfma_i32_16x16x32_i8 v[196:199], a[88:89], v[172:173], v[196:199]// 000000009EDC: D3D700C4 0F135958
	v_mfma_i32_16x16x32_i8 v[196:199], a[90:91], v[174:175], v[196:199]// 000000009EE4: D3D700C4 0F135D5A
	v_mfma_i32_16x16x32_i8 v[200:203], a[92:93], v[148:149], v[200:203]// 000000009EEC: D3D700C8 0F23295C
	buffer_load_dwordx4 a[188:191], v43, s[12:15], 0 offen     // 000000009EF4: E05C1000 8083BC2B
	v_mfma_i32_16x16x32_i8 v[200:203], a[94:95], v[150:151], v[200:203]// 000000009EFC: D3D700C8 0F232D5E
	v_mfma_i32_16x16x32_i8 v[204:207], a[92:93], v[172:173], v[204:207]// 000000009F04: D3D700CC 0F33595C
	v_mfma_i32_16x16x32_i8 v[204:207], a[94:95], v[174:175], v[204:207]// 000000009F0C: D3D700CC 0F335D5E
	s_add_u32 s60, 0x200, s80                                  // 000000009F14: 803C50FF 00000200
	s_cmp_lt_u32 s60, s81                                      // 000000009F1C: BF0A513C
	s_cselect_b32 s56, s56, 0                                  // 000000009F20: 85388038
	s_cselect_b32 s78, s78, 0                                  // 000000009F24: 854E804E
	s_cselect_b32 s79, s79, 0                                  // 000000009F28: 854F804F
	s_add_u32 s12, s56, s12                                    // 000000009F2C: 800C0C38
	s_addc_u32 s13, 0, s13                                     // 000000009F30: 820D0D80
	s_add_u32 s16, s79, s16                                    // 000000009F34: 8010104F
	s_addc_u32 s17, 0, s17                                     // 000000009F38: 82111180
	v_cvt_f32_i32_e32 v176, v176                               // 000000009F3C: 7F600BB0
	v_cvt_f32_i32_e32 v177, v177                               // 000000009F40: 7F620BB1
	v_cvt_f32_i32_e32 v178, v178                               // 000000009F44: 7F640BB2
	v_cvt_f32_i32_e32 v179, v179                               // 000000009F48: 7F660BB3
	v_mul_f32_e32 v176, v24, v176                              // 000000009F4C: 0B616118
	v_mul_f32_e32 v177, v24, v177                              // 000000009F50: 0B636318
	v_mul_f32_e32 v178, v24, v178                              // 000000009F54: 0B656518
	v_mul_f32_e32 v179, v24, v179                              // 000000009F58: 0B676718
	v_mul_f32_dpp v176, v12, v176 row_newbcast:0 row_mask:0xf bank_mask:0xf// 000000009F5C: 0B6160FA FF01500C
	v_mul_f32_dpp v177, v12, v177 row_newbcast:1 row_mask:0xf bank_mask:0xf// 000000009F64: 0B6362FA FF01510C
	v_mul_f32_dpp v178, v12, v178 row_newbcast:2 row_mask:0xf bank_mask:0xf// 000000009F6C: 0B6564FA FF01520C
	v_mul_f32_dpp v179, v12, v179 row_newbcast:3 row_mask:0xf bank_mask:0xf// 000000009F74: 0B6766FA FF01530C
	v_mul_f32_e32 v176, v20, v176                              // 000000009F7C: 0B616114
	v_mul_f32_e32 v177, v20, v177                              // 000000009F80: 0B636314
	v_mul_f32_e32 v178, v20, v178                              // 000000009F84: 0B656514
	v_mul_f32_e32 v179, v20, v179                              // 000000009F88: 0B676714
	v_cvt_f32_i32_e32 v180, v180                               // 000000009F8C: 7F680BB4
	v_cvt_f32_i32_e32 v181, v181                               // 000000009F90: 7F6A0BB5
	v_cvt_f32_i32_e32 v182, v182                               // 000000009F94: 7F6C0BB6
	v_cvt_f32_i32_e32 v183, v183                               // 000000009F98: 7F6E0BB7
	v_mul_f32_e32 v180, v25, v180                              // 000000009F9C: 0B696919
	v_mul_f32_e32 v181, v25, v181                              // 000000009FA0: 0B6B6B19
	v_mul_f32_e32 v182, v25, v182                              // 000000009FA4: 0B6D6D19
	v_mul_f32_e32 v183, v25, v183                              // 000000009FA8: 0B6F6F19
	v_mul_f32_dpp v180, v12, v180 row_newbcast:0 row_mask:0xf bank_mask:0xf// 000000009FAC: 0B6968FA FF01500C
	v_mul_f32_dpp v181, v12, v181 row_newbcast:1 row_mask:0xf bank_mask:0xf// 000000009FB4: 0B6B6AFA FF01510C
	v_mul_f32_dpp v182, v12, v182 row_newbcast:2 row_mask:0xf bank_mask:0xf// 000000009FBC: 0B6D6CFA FF01520C
	v_mul_f32_dpp v183, v12, v183 row_newbcast:3 row_mask:0xf bank_mask:0xf// 000000009FC4: 0B6F6EFA FF01530C
	v_mul_f32_e32 v180, v21, v180                              // 000000009FCC: 0B696915
	v_mul_f32_e32 v181, v21, v181                              // 000000009FD0: 0B6B6B15
	v_mul_f32_e32 v182, v21, v182                              // 000000009FD4: 0B6D6D15
	v_mul_f32_e32 v183, v21, v183                              // 000000009FD8: 0B6F6F15
	v_cvt_f32_i32_e32 v184, v184                               // 000000009FDC: 7F700BB8
	v_cvt_f32_i32_e32 v185, v185                               // 000000009FE0: 7F720BB9
	v_cvt_f32_i32_e32 v186, v186                               // 000000009FE4: 7F740BBA
	v_cvt_f32_i32_e32 v187, v187                               // 000000009FE8: 7F760BBB
	v_mul_f32_e32 v184, v24, v184                              // 000000009FEC: 0B717118
	v_mul_f32_e32 v185, v24, v185                              // 000000009FF0: 0B737318
	v_mul_f32_e32 v186, v24, v186                              // 000000009FF4: 0B757518
	v_mul_f32_e32 v187, v24, v187                              // 000000009FF8: 0B777718
	v_mul_f32_dpp v184, v12, v184 row_newbcast:4 row_mask:0xf bank_mask:0xf// 000000009FFC: 0B7170FA FF01540C
	v_mul_f32_dpp v185, v12, v185 row_newbcast:5 row_mask:0xf bank_mask:0xf// 00000000A004: 0B7372FA FF01550C
	v_mul_f32_dpp v186, v12, v186 row_newbcast:6 row_mask:0xf bank_mask:0xf// 00000000A00C: 0B7574FA FF01560C
	v_mul_f32_dpp v187, v12, v187 row_newbcast:7 row_mask:0xf bank_mask:0xf// 00000000A014: 0B7776FA FF01570C
	v_mul_f32_e32 v184, v20, v184                              // 00000000A01C: 0B717114
	v_mul_f32_e32 v185, v20, v185                              // 00000000A020: 0B737314
	v_mul_f32_e32 v186, v20, v186                              // 00000000A024: 0B757514
	v_mul_f32_e32 v187, v20, v187                              // 00000000A028: 0B777714
	v_cvt_f32_i32_e32 v188, v188                               // 00000000A02C: 7F780BBC
	v_cvt_f32_i32_e32 v189, v189                               // 00000000A030: 7F7A0BBD
	v_cvt_f32_i32_e32 v190, v190                               // 00000000A034: 7F7C0BBE
	v_cvt_f32_i32_e32 v191, v191                               // 00000000A038: 7F7E0BBF
	v_mul_f32_e32 v188, v25, v188                              // 00000000A03C: 0B797919
	v_mul_f32_e32 v189, v25, v189                              // 00000000A040: 0B7B7B19
	v_mul_f32_e32 v190, v25, v190                              // 00000000A044: 0B7D7D19
	v_mul_f32_e32 v191, v25, v191                              // 00000000A048: 0B7F7F19
	v_mul_f32_dpp v188, v12, v188 row_newbcast:4 row_mask:0xf bank_mask:0xf// 00000000A04C: 0B7978FA FF01540C
	v_mul_f32_dpp v189, v12, v189 row_newbcast:5 row_mask:0xf bank_mask:0xf// 00000000A054: 0B7B7AFA FF01550C
	v_mul_f32_dpp v190, v12, v190 row_newbcast:6 row_mask:0xf bank_mask:0xf// 00000000A05C: 0B7D7CFA FF01560C
	v_mul_f32_dpp v191, v12, v191 row_newbcast:7 row_mask:0xf bank_mask:0xf// 00000000A064: 0B7F7EFA FF01570C
	v_mul_f32_e32 v188, v21, v188                              // 00000000A06C: 0B797915
	v_mul_f32_e32 v189, v21, v189                              // 00000000A070: 0B7B7B15
	v_mul_f32_e32 v190, v21, v190                              // 00000000A074: 0B7D7D15
	v_mul_f32_e32 v191, v21, v191                              // 00000000A078: 0B7F7F15
	v_cvt_f32_i32_e32 v192, v192                               // 00000000A07C: 7F800BC0
	v_cvt_f32_i32_e32 v193, v193                               // 00000000A080: 7F820BC1
	v_cvt_f32_i32_e32 v194, v194                               // 00000000A084: 7F840BC2
	v_cvt_f32_i32_e32 v195, v195                               // 00000000A088: 7F860BC3
	v_mul_f32_e32 v192, v24, v192                              // 00000000A08C: 0B818118
	v_mul_f32_e32 v193, v24, v193                              // 00000000A090: 0B838318
	v_mul_f32_e32 v194, v24, v194                              // 00000000A094: 0B858518
	v_mul_f32_e32 v195, v24, v195                              // 00000000A098: 0B878718
	v_mul_f32_dpp v192, v12, v192 row_newbcast:8 row_mask:0xf bank_mask:0xf// 00000000A09C: 0B8180FA FF01580C
	v_mul_f32_dpp v193, v12, v193 row_newbcast:9 row_mask:0xf bank_mask:0xf// 00000000A0A4: 0B8382FA FF01590C
	v_mul_f32_dpp v194, v12, v194 row_newbcast:10 row_mask:0xf bank_mask:0xf// 00000000A0AC: 0B8584FA FF015A0C
	v_mul_f32_dpp v195, v12, v195 row_newbcast:11 row_mask:0xf bank_mask:0xf// 00000000A0B4: 0B8786FA FF015B0C
	v_mul_f32_e32 v192, v20, v192                              // 00000000A0BC: 0B818114
	v_mul_f32_e32 v193, v20, v193                              // 00000000A0C0: 0B838314
	v_mul_f32_e32 v194, v20, v194                              // 00000000A0C4: 0B858514
	v_mul_f32_e32 v195, v20, v195                              // 00000000A0C8: 0B878714
	v_cvt_f32_i32_e32 v196, v196                               // 00000000A0CC: 7F880BC4
	v_cvt_f32_i32_e32 v197, v197                               // 00000000A0D0: 7F8A0BC5
	v_cvt_f32_i32_e32 v198, v198                               // 00000000A0D4: 7F8C0BC6
	v_cvt_f32_i32_e32 v199, v199                               // 00000000A0D8: 7F8E0BC7
	v_mul_f32_e32 v196, v25, v196                              // 00000000A0DC: 0B898919
	v_mul_f32_e32 v197, v25, v197                              // 00000000A0E0: 0B8B8B19
	v_mul_f32_e32 v198, v25, v198                              // 00000000A0E4: 0B8D8D19
	v_mul_f32_e32 v199, v25, v199                              // 00000000A0E8: 0B8F8F19
	v_mul_f32_dpp v196, v12, v196 row_newbcast:8 row_mask:0xf bank_mask:0xf// 00000000A0EC: 0B8988FA FF01580C
	v_mul_f32_dpp v197, v12, v197 row_newbcast:9 row_mask:0xf bank_mask:0xf// 00000000A0F4: 0B8B8AFA FF01590C
	v_mul_f32_dpp v198, v12, v198 row_newbcast:10 row_mask:0xf bank_mask:0xf// 00000000A0FC: 0B8D8CFA FF015A0C
	v_mul_f32_dpp v199, v12, v199 row_newbcast:11 row_mask:0xf bank_mask:0xf// 00000000A104: 0B8F8EFA FF015B0C
	v_mul_f32_e32 v196, v21, v196                              // 00000000A10C: 0B898915
	v_mul_f32_e32 v197, v21, v197                              // 00000000A110: 0B8B8B15
	v_mul_f32_e32 v198, v21, v198                              // 00000000A114: 0B8D8D15
	v_mul_f32_e32 v199, v21, v199                              // 00000000A118: 0B8F8F15
	v_cvt_f32_i32_e32 v200, v200                               // 00000000A11C: 7F900BC8
	v_cvt_f32_i32_e32 v201, v201                               // 00000000A120: 7F920BC9
	v_cvt_f32_i32_e32 v202, v202                               // 00000000A124: 7F940BCA
	v_cvt_f32_i32_e32 v203, v203                               // 00000000A128: 7F960BCB
	v_mul_f32_e32 v200, v24, v200                              // 00000000A12C: 0B919118
	v_mul_f32_e32 v201, v24, v201                              // 00000000A130: 0B939318
	v_mul_f32_e32 v202, v24, v202                              // 00000000A134: 0B959518
	v_mul_f32_e32 v203, v24, v203                              // 00000000A138: 0B979718
	v_mul_f32_dpp v200, v12, v200 row_newbcast:12 row_mask:0xf bank_mask:0xf// 00000000A13C: 0B9190FA FF015C0C
	v_mul_f32_dpp v201, v12, v201 row_newbcast:13 row_mask:0xf bank_mask:0xf// 00000000A144: 0B9392FA FF015D0C
	v_mul_f32_dpp v202, v12, v202 row_newbcast:14 row_mask:0xf bank_mask:0xf// 00000000A14C: 0B9594FA FF015E0C
	v_mul_f32_dpp v203, v12, v203 row_newbcast:15 row_mask:0xf bank_mask:0xf// 00000000A154: 0B9796FA FF015F0C
	v_mul_f32_e32 v200, v20, v200                              // 00000000A15C: 0B919114
	v_mul_f32_e32 v201, v20, v201                              // 00000000A160: 0B939314
	v_mul_f32_e32 v202, v20, v202                              // 00000000A164: 0B959514
	v_mul_f32_e32 v203, v20, v203                              // 00000000A168: 0B979714
	v_cvt_f32_i32_e32 v204, v204                               // 00000000A16C: 7F980BCC
	v_cvt_f32_i32_e32 v205, v205                               // 00000000A170: 7F9A0BCD
	v_cvt_f32_i32_e32 v206, v206                               // 00000000A174: 7F9C0BCE
	v_cvt_f32_i32_e32 v207, v207                               // 00000000A178: 7F9E0BCF
	v_mul_f32_e32 v204, v25, v204                              // 00000000A17C: 0B999919
	v_mul_f32_e32 v205, v25, v205                              // 00000000A180: 0B9B9B19
	v_mul_f32_e32 v206, v25, v206                              // 00000000A184: 0B9D9D19
	v_mul_f32_e32 v207, v25, v207                              // 00000000A188: 0B9F9F19
	v_mul_f32_dpp v204, v12, v204 row_newbcast:12 row_mask:0xf bank_mask:0xf// 00000000A18C: 0B9998FA FF015C0C
	v_mul_f32_dpp v205, v12, v205 row_newbcast:13 row_mask:0xf bank_mask:0xf// 00000000A194: 0B9B9AFA FF015D0C
	v_mul_f32_dpp v206, v12, v206 row_newbcast:14 row_mask:0xf bank_mask:0xf// 00000000A19C: 0B9D9CFA FF015E0C
	v_mul_f32_dpp v207, v12, v207 row_newbcast:15 row_mask:0xf bank_mask:0xf// 00000000A1A4: 0B9F9EFA FF015F0C
	v_mul_f32_e32 v204, v21, v204                              // 00000000A1AC: 0B999915
	v_mul_f32_e32 v205, v21, v205                              // 00000000A1B0: 0B9B9B15
	v_mul_f32_e32 v206, v21, v206                              // 00000000A1B4: 0B9D9D15
	v_mul_f32_e32 v207, v21, v207                              // 00000000A1B8: 0B9F9F15
	v_cvt_pkrtz_f16_f32 v176, v176, v177                       // 00000000A1BC: D29600B0 000363B0
	v_cvt_pkrtz_f16_f32 v177, v178, v179                       // 00000000A1C4: D29600B1 000367B2
	v_cvt_pkrtz_f16_f32 v178, v180, v181                       // 00000000A1CC: D29600B2 00036BB4
	v_cvt_pkrtz_f16_f32 v179, v182, v183                       // 00000000A1D4: D29600B3 00036FB6
	v_cvt_pkrtz_f16_f32 v180, v184, v185                       // 00000000A1DC: D29600B4 000373B8
	v_cvt_pkrtz_f16_f32 v181, v186, v187                       // 00000000A1E4: D29600B5 000377BA
	v_cvt_pkrtz_f16_f32 v182, v188, v189                       // 00000000A1EC: D29600B6 00037BBC
	v_cvt_pkrtz_f16_f32 v183, v190, v191                       // 00000000A1F4: D29600B7 00037FBE
	v_cvt_pkrtz_f16_f32 v184, v192, v193                       // 00000000A1FC: D29600B8 000383C0
	v_cvt_pkrtz_f16_f32 v185, v194, v195                       // 00000000A204: D29600B9 000387C2
	v_cvt_pkrtz_f16_f32 v186, v196, v197                       // 00000000A20C: D29600BA 00038BC4
	v_cvt_pkrtz_f16_f32 v187, v198, v199                       // 00000000A214: D29600BB 00038FC6
	v_cvt_pkrtz_f16_f32 v188, v200, v201                       // 00000000A21C: D29600BC 000393C8
	v_cvt_pkrtz_f16_f32 v189, v202, v203                       // 00000000A224: D29600BD 000397CA
	v_cvt_pkrtz_f16_f32 v190, v204, v205                       // 00000000A22C: D29600BE 00039BCC
	v_cvt_pkrtz_f16_f32 v191, v206, v207                       // 00000000A234: D29600BF 00039FCE
	ds_write_b64 v3, v[176:177] offset:30976                   // 00000000A23C: D89A7900 0000B003
	ds_write_b64 v3, v[178:179] offset:39680                   // 00000000A244: D89A9B00 0000B203
	ds_write_b64 v3, v[180:181] offset:33152                   // 00000000A24C: D89A8180 0000B403
	ds_write_b64 v3, v[182:183] offset:41856                   // 00000000A254: D89AA380 0000B603
	ds_write_b64 v3, v[184:185] offset:35328                   // 00000000A25C: D89A8A00 0000B803
	ds_write_b64 v3, v[186:187] offset:44032                   // 00000000A264: D89AAC00 0000BA03
	ds_write_b64 v3, v[188:189] offset:37504                   // 00000000A26C: D89A9280 0000BC03
	ds_write_b64 v3, v[190:191] offset:46208                   // 00000000A274: D89AB480 0000BE03
	s_waitcnt lgkmcnt(0)                                       // 00000000A27C: BF8CC07F
	s_barrier                                                  // 00000000A280: BF8A0000
	ds_read_b32 v64, v4 offset:30976                           // 00000000A284: D86C7900 40000004
	ds_read_b32 v65, v4 offset:35328                           // 00000000A28C: D86C8A00 41000004
	ds_read_b32 v66, v4 offset:31008                           // 00000000A294: D86C7920 42000004
	ds_read_b32 v67, v4 offset:35360                           // 00000000A29C: D86C8A20 43000004
	ds_read_b32 v68, v4 offset:31040                           // 00000000A2A4: D86C7940 44000004
	ds_read_b32 v69, v4 offset:35392                           // 00000000A2AC: D86C8A40 45000004
	ds_read_b32 v70, v4 offset:31072                           // 00000000A2B4: D86C7960 46000004
	ds_read_b32 v71, v4 offset:35424                           // 00000000A2BC: D86C8A60 47000004
	ds_read_b32 v72, v4 offset:39680                           // 00000000A2C4: D86C9B00 48000004
	ds_read_b32 v73, v4 offset:44032                           // 00000000A2CC: D86CAC00 49000004
	ds_read_b32 v74, v4 offset:39712                           // 00000000A2D4: D86C9B20 4A000004
	ds_read_b32 v75, v4 offset:44064                           // 00000000A2DC: D86CAC20 4B000004
	ds_read_b32 v76, v4 offset:39744                           // 00000000A2E4: D86C9B40 4C000004
	ds_read_b32 v77, v4 offset:44096                           // 00000000A2EC: D86CAC40 4D000004
	ds_read_b32 v78, v4 offset:39776                           // 00000000A2F4: D86C9B60 4E000004
	ds_read_b32 v79, v4 offset:44128                           // 00000000A2FC: D86CAC60 4F000004
	s_waitcnt lgkmcnt(0)                                       // 00000000A304: BF8CC07F
	s_mov_b64 exec, s[20:21]                                   // 00000000A308: BEFE0114
	global_atomic_pk_add_f16 v80, v64, s[8:9]                  // 00000000A30C: DD388000 00084050
	s_mov_b64 exec, s[36:37]                                   // 00000000A314: BEFE0124
	s_mov_b64 exec, s[20:21]                                   // 00000000A318: BEFE0114
	global_atomic_pk_add_f16 v80, v65, s[8:9] offset:256       // 00000000A31C: DD388100 00084150
	s_mov_b64 exec, s[36:37]                                   // 00000000A324: BEFE0124
	s_mov_b64 exec, s[22:23]                                   // 00000000A328: BEFE0116
	global_atomic_pk_add_f16 v82, v66, s[8:9]                  // 00000000A32C: DD388000 00084252
	s_mov_b64 exec, s[36:37]                                   // 00000000A334: BEFE0124
	s_mov_b64 exec, s[22:23]                                   // 00000000A338: BEFE0116
	global_atomic_pk_add_f16 v82, v67, s[8:9] offset:256       // 00000000A33C: DD388100 00084352
	s_mov_b64 exec, s[36:37]                                   // 00000000A344: BEFE0124
	s_mov_b64 exec, s[24:25]                                   // 00000000A348: BEFE0118
	global_atomic_pk_add_f16 v84, v68, s[8:9]                  // 00000000A34C: DD388000 00084454
	s_mov_b64 exec, s[36:37]                                   // 00000000A354: BEFE0124
	s_mov_b64 exec, s[24:25]                                   // 00000000A358: BEFE0118
	global_atomic_pk_add_f16 v84, v69, s[8:9] offset:256       // 00000000A35C: DD388100 00084554
	s_mov_b64 exec, s[36:37]                                   // 00000000A364: BEFE0124
	s_mov_b64 exec, s[26:27]                                   // 00000000A368: BEFE011A
	global_atomic_pk_add_f16 v86, v70, s[8:9]                  // 00000000A36C: DD388000 00084656
	s_mov_b64 exec, s[36:37]                                   // 00000000A374: BEFE0124
	s_mov_b64 exec, s[26:27]                                   // 00000000A378: BEFE011A
	global_atomic_pk_add_f16 v86, v71, s[8:9] offset:256       // 00000000A37C: DD388100 00084756
	s_mov_b64 exec, s[36:37]                                   // 00000000A384: BEFE0124
	s_mov_b64 exec, s[28:29]                                   // 00000000A388: BEFE011C
	global_atomic_pk_add_f16 v88, v72, s[8:9]                  // 00000000A38C: DD388000 00084858
	s_mov_b64 exec, s[36:37]                                   // 00000000A394: BEFE0124
	s_mov_b64 exec, s[28:29]                                   // 00000000A398: BEFE011C
	global_atomic_pk_add_f16 v88, v73, s[8:9] offset:256       // 00000000A39C: DD388100 00084958
	s_mov_b64 exec, s[36:37]                                   // 00000000A3A4: BEFE0124
	s_mov_b64 exec, s[30:31]                                   // 00000000A3A8: BEFE011E
	global_atomic_pk_add_f16 v90, v74, s[8:9]                  // 00000000A3AC: DD388000 00084A5A
	s_mov_b64 exec, s[36:37]                                   // 00000000A3B4: BEFE0124
	s_mov_b64 exec, s[30:31]                                   // 00000000A3B8: BEFE011E
	global_atomic_pk_add_f16 v90, v75, s[8:9] offset:256       // 00000000A3BC: DD388100 00084B5A
	s_mov_b64 exec, s[36:37]                                   // 00000000A3C4: BEFE0124
	s_mov_b64 exec, s[32:33]                                   // 00000000A3C8: BEFE0120
	global_atomic_pk_add_f16 v92, v76, s[8:9]                  // 00000000A3CC: DD388000 00084C5C
	s_mov_b64 exec, s[36:37]                                   // 00000000A3D4: BEFE0124
	s_mov_b64 exec, s[32:33]                                   // 00000000A3D8: BEFE0120
	global_atomic_pk_add_f16 v92, v77, s[8:9] offset:256       // 00000000A3DC: DD388100 00084D5C
	s_mov_b64 exec, s[36:37]                                   // 00000000A3E4: BEFE0124
	s_mov_b64 exec, s[34:35]                                   // 00000000A3E8: BEFE0122
	global_atomic_pk_add_f16 v94, v78, s[8:9]                  // 00000000A3EC: DD388000 00084E5E
	s_mov_b64 exec, s[36:37]                                   // 00000000A3F4: BEFE0124
	s_mov_b64 exec, s[34:35]                                   // 00000000A3F8: BEFE0122
	global_atomic_pk_add_f16 v94, v79, s[8:9] offset:256       // 00000000A3FC: DD388100 00084F5E
	s_mov_b64 exec, s[36:37]                                   // 00000000A404: BEFE0124
	s_add_u32 s8, s59, s8                                      // 00000000A408: 8008083B
	s_addc_u32 s9, 0, s9                                       // 00000000A40C: 82090980
	s_addk_i32 s80, 0x100                                      // 00000000A410: B7500100
	s_cmp_lt_i32 s80, s81                                      // 00000000A414: BF045150
	s_cbranch_scc0 label_111E                                  // 00000000A418: BF84F397
	s_waitcnt vmcnt(37)                                        // 00000000A41C: BF8C8F75
	s_barrier                                                  // 00000000A420: BF8A0000
	v_mfma_i32_16x16x32_i8 v[208:211], a[96:97], v[128:129], 0 // 00000000A424: D3D700D0 0A030160
	buffer_load_dwordx4 a[0:3], v40, s[12:15], 0 offen         // 00000000A42C: E05C1000 80830028
	v_mfma_i32_16x16x32_i8 v[208:211], a[98:99], v[130:131], v[208:211]// 00000000A434: D3D700D0 0F430562
	v_mfma_i32_16x16x32_i8 v[212:215], a[96:97], v[152:153], 0 // 00000000A43C: D3D700D4 0A033160
	v_mfma_i32_16x16x32_i8 v[212:215], a[98:99], v[154:155], v[212:215]// 00000000A444: D3D700D4 0F533562
	v_mfma_i32_16x16x32_i8 v[216:219], a[100:101], v[128:129], 0// 00000000A44C: D3D700D8 0A030164
	buffer_load_dwordx4 a[4:7], v41, s[12:15], 0 offen         // 00000000A454: E05C1000 80830429
	v_mfma_i32_16x16x32_i8 v[216:219], a[102:103], v[130:131], v[216:219]// 00000000A45C: D3D700D8 0F630566
	v_mfma_i32_16x16x32_i8 v[220:223], a[100:101], v[152:153], 0// 00000000A464: D3D700DC 0A033164
	v_mfma_i32_16x16x32_i8 v[220:223], a[102:103], v[154:155], v[220:223]// 00000000A46C: D3D700DC 0F733566
	v_mfma_i32_16x16x32_i8 v[224:227], a[104:105], v[128:129], 0// 00000000A474: D3D700E0 0A030168
	buffer_load_dwordx4 a[8:11], v42, s[12:15], 0 offen        // 00000000A47C: E05C1000 8083082A
	v_mfma_i32_16x16x32_i8 v[224:227], a[106:107], v[130:131], v[224:227]// 00000000A484: D3D700E0 0F83056A
	v_mfma_i32_16x16x32_i8 v[228:231], a[104:105], v[152:153], 0// 00000000A48C: D3D700E4 0A033168
	v_mfma_i32_16x16x32_i8 v[228:231], a[106:107], v[154:155], v[228:231]// 00000000A494: D3D700E4 0F93356A
	v_mfma_i32_16x16x32_i8 v[232:235], a[108:109], v[128:129], 0// 00000000A49C: D3D700E8 0A03016C
	buffer_load_dwordx4 a[12:15], v43, s[12:15], 0 offen       // 00000000A4A4: E05C1000 80830C2B
	s_add_u32 s12, s78, s12                                    // 00000000A4AC: 800C0C4E
	s_addc_u32 s13, 0, s13                                     // 00000000A4B0: 820D0D80
	v_mfma_i32_16x16x32_i8 v[232:235], a[110:111], v[130:131], v[232:235]// 00000000A4B4: D3D700E8 0FA3056E
	v_mfma_i32_16x16x32_i8 v[236:239], a[108:109], v[152:153], 0// 00000000A4BC: D3D700EC 0A03316C
	v_mfma_i32_16x16x32_i8 v[236:239], a[110:111], v[154:155], v[236:239]// 00000000A4C4: D3D700EC 0FB3356E
	s_waitcnt vmcnt(37)                                        // 00000000A4CC: BF8C8F75
	v_mfma_i32_16x16x32_i8 v[208:211], a[112:113], v[132:133], v[208:211]// 00000000A4D0: D3D700D0 0F430970
	buffer_load_dwordx4 a[16:19], v40, s[12:15], 0 offen       // 00000000A4D8: E05C1000 80831028
	v_mfma_i32_16x16x32_i8 v[208:211], a[114:115], v[134:135], v[208:211]// 00000000A4E0: D3D700D0 0F430D72
	v_mfma_i32_16x16x32_i8 v[212:215], a[112:113], v[156:157], v[212:215]// 00000000A4E8: D3D700D4 0F533970
	v_mfma_i32_16x16x32_i8 v[212:215], a[114:115], v[158:159], v[212:215]// 00000000A4F0: D3D700D4 0F533D72
	v_mfma_i32_16x16x32_i8 v[216:219], a[116:117], v[132:133], v[216:219]// 00000000A4F8: D3D700D8 0F630974
	buffer_load_dwordx4 a[20:23], v41, s[12:15], 0 offen       // 00000000A500: E05C1000 80831429
	v_mfma_i32_16x16x32_i8 v[216:219], a[118:119], v[134:135], v[216:219]// 00000000A508: D3D700D8 0F630D76
	v_mfma_i32_16x16x32_i8 v[220:223], a[116:117], v[156:157], v[220:223]// 00000000A510: D3D700DC 0F733974
	v_mfma_i32_16x16x32_i8 v[220:223], a[118:119], v[158:159], v[220:223]// 00000000A518: D3D700DC 0F733D76
	v_mfma_i32_16x16x32_i8 v[224:227], a[120:121], v[132:133], v[224:227]// 00000000A520: D3D700E0 0F830978
	buffer_load_dwordx4 a[24:27], v42, s[12:15], 0 offen       // 00000000A528: E05C1000 8083182A
	v_mfma_i32_16x16x32_i8 v[224:227], a[122:123], v[134:135], v[224:227]// 00000000A530: D3D700E0 0F830D7A
	v_mfma_i32_16x16x32_i8 v[228:231], a[120:121], v[156:157], v[228:231]// 00000000A538: D3D700E4 0F933978
	v_mfma_i32_16x16x32_i8 v[228:231], a[122:123], v[158:159], v[228:231]// 00000000A540: D3D700E4 0F933D7A
	v_mfma_i32_16x16x32_i8 v[232:235], a[124:125], v[132:133], v[232:235]// 00000000A548: D3D700E8 0FA3097C
	buffer_load_dwordx4 a[28:31], v43, s[12:15], 0 offen       // 00000000A550: E05C1000 80831C2B
	s_add_u32 s12, s78, s12                                    // 00000000A558: 800C0C4E
	s_addc_u32 s13, 0, s13                                     // 00000000A55C: 820D0D80
	v_mfma_i32_16x16x32_i8 v[232:235], a[126:127], v[134:135], v[232:235]// 00000000A560: D3D700E8 0FA30D7E
	v_mfma_i32_16x16x32_i8 v[236:239], a[124:125], v[156:157], v[236:239]// 00000000A568: D3D700EC 0FB3397C
	v_mfma_i32_16x16x32_i8 v[236:239], a[126:127], v[158:159], v[236:239]// 00000000A570: D3D700EC 0FB33D7E
	s_waitcnt vmcnt(37)                                        // 00000000A578: BF8C8F75
	v_mfma_i32_16x16x32_i8 v[208:211], a[128:129], v[136:137], v[208:211]// 00000000A57C: D3D700D0 0F431180
	buffer_load_dwordx4 a[32:35], v40, s[12:15], 0 offen       // 00000000A584: E05C1000 80832028
	v_mfma_i32_16x16x32_i8 v[208:211], a[130:131], v[138:139], v[208:211]// 00000000A58C: D3D700D0 0F431582
	v_mfma_i32_16x16x32_i8 v[212:215], a[128:129], v[160:161], v[212:215]// 00000000A594: D3D700D4 0F534180
	v_mfma_i32_16x16x32_i8 v[212:215], a[130:131], v[162:163], v[212:215]// 00000000A59C: D3D700D4 0F534582
	v_mfma_i32_16x16x32_i8 v[216:219], a[132:133], v[136:137], v[216:219]// 00000000A5A4: D3D700D8 0F631184
	buffer_load_dwordx4 a[36:39], v41, s[12:15], 0 offen       // 00000000A5AC: E05C1000 80832429
	v_mfma_i32_16x16x32_i8 v[216:219], a[134:135], v[138:139], v[216:219]// 00000000A5B4: D3D700D8 0F631586
	v_mfma_i32_16x16x32_i8 v[220:223], a[132:133], v[160:161], v[220:223]// 00000000A5BC: D3D700DC 0F734184
	v_mfma_i32_16x16x32_i8 v[220:223], a[134:135], v[162:163], v[220:223]// 00000000A5C4: D3D700DC 0F734586
	v_mfma_i32_16x16x32_i8 v[224:227], a[136:137], v[136:137], v[224:227]// 00000000A5CC: D3D700E0 0F831188
	buffer_load_dwordx4 a[40:43], v42, s[12:15], 0 offen       // 00000000A5D4: E05C1000 8083282A
	v_mfma_i32_16x16x32_i8 v[224:227], a[138:139], v[138:139], v[224:227]// 00000000A5DC: D3D700E0 0F83158A
	v_mfma_i32_16x16x32_i8 v[228:231], a[136:137], v[160:161], v[228:231]// 00000000A5E4: D3D700E4 0F934188
	v_mfma_i32_16x16x32_i8 v[228:231], a[138:139], v[162:163], v[228:231]// 00000000A5EC: D3D700E4 0F93458A
	v_mfma_i32_16x16x32_i8 v[232:235], a[140:141], v[136:137], v[232:235]// 00000000A5F4: D3D700E8 0FA3118C
	buffer_load_dwordx4 a[44:47], v43, s[12:15], 0 offen       // 00000000A5FC: E05C1000 80832C2B
	s_add_u32 s12, s78, s12                                    // 00000000A604: 800C0C4E
	s_addc_u32 s13, 0, s13                                     // 00000000A608: 820D0D80
	v_mfma_i32_16x16x32_i8 v[232:235], a[142:143], v[138:139], v[232:235]// 00000000A60C: D3D700E8 0FA3158E
	v_mfma_i32_16x16x32_i8 v[236:239], a[140:141], v[160:161], v[236:239]// 00000000A614: D3D700EC 0FB3418C
	v_mfma_i32_16x16x32_i8 v[236:239], a[142:143], v[162:163], v[236:239]// 00000000A61C: D3D700EC 0FB3458E
	s_waitcnt vmcnt(37)                                        // 00000000A624: BF8C8F75
	v_mfma_i32_16x16x32_i8 v[208:211], a[144:145], v[140:141], v[208:211]// 00000000A628: D3D700D0 0F431990
	buffer_load_dwordx4 a[48:51], v40, s[12:15], 0 offen       // 00000000A630: E05C1000 80833028
	v_mfma_i32_16x16x32_i8 v[208:211], a[146:147], v[142:143], v[208:211]// 00000000A638: D3D700D0 0F431D92
	v_mfma_i32_16x16x32_i8 v[212:215], a[144:145], v[164:165], v[212:215]// 00000000A640: D3D700D4 0F534990
	v_mfma_i32_16x16x32_i8 v[212:215], a[146:147], v[166:167], v[212:215]// 00000000A648: D3D700D4 0F534D92
	v_mfma_i32_16x16x32_i8 v[216:219], a[148:149], v[140:141], v[216:219]// 00000000A650: D3D700D8 0F631994
	buffer_load_dwordx4 a[52:55], v41, s[12:15], 0 offen       // 00000000A658: E05C1000 80833429
	v_mfma_i32_16x16x32_i8 v[216:219], a[150:151], v[142:143], v[216:219]// 00000000A660: D3D700D8 0F631D96
	v_mfma_i32_16x16x32_i8 v[220:223], a[148:149], v[164:165], v[220:223]// 00000000A668: D3D700DC 0F734994
	v_mfma_i32_16x16x32_i8 v[220:223], a[150:151], v[166:167], v[220:223]// 00000000A670: D3D700DC 0F734D96
	v_mfma_i32_16x16x32_i8 v[224:227], a[152:153], v[140:141], v[224:227]// 00000000A678: D3D700E0 0F831998
	buffer_load_dwordx4 a[56:59], v42, s[12:15], 0 offen       // 00000000A680: E05C1000 8083382A
	v_mfma_i32_16x16x32_i8 v[224:227], a[154:155], v[142:143], v[224:227]// 00000000A688: D3D700E0 0F831D9A
	v_mfma_i32_16x16x32_i8 v[228:231], a[152:153], v[164:165], v[228:231]// 00000000A690: D3D700E4 0F934998
	v_mfma_i32_16x16x32_i8 v[228:231], a[154:155], v[166:167], v[228:231]// 00000000A698: D3D700E4 0F934D9A
	v_mfma_i32_16x16x32_i8 v[232:235], a[156:157], v[140:141], v[232:235]// 00000000A6A0: D3D700E8 0FA3199C
	buffer_load_dwordx4 a[60:63], v43, s[12:15], 0 offen       // 00000000A6A8: E05C1000 80833C2B
	s_add_u32 s12, s78, s12                                    // 00000000A6B0: 800C0C4E
	s_addc_u32 s13, 0, s13                                     // 00000000A6B4: 820D0D80
	v_mfma_i32_16x16x32_i8 v[232:235], a[158:159], v[142:143], v[232:235]// 00000000A6B8: D3D700E8 0FA31D9E
	v_mfma_i32_16x16x32_i8 v[236:239], a[156:157], v[164:165], v[236:239]// 00000000A6C0: D3D700EC 0FB3499C
	v_mfma_i32_16x16x32_i8 v[236:239], a[158:159], v[166:167], v[236:239]// 00000000A6C8: D3D700EC 0FB34D9E
	s_waitcnt vmcnt(37)                                        // 00000000A6D0: BF8C8F75
	v_mfma_i32_16x16x32_i8 v[208:211], a[160:161], v[144:145], v[208:211]// 00000000A6D4: D3D700D0 0F4321A0
	buffer_load_dwordx4 a[64:67], v40, s[12:15], 0 offen       // 00000000A6DC: E05C1000 80834028
	v_mfma_i32_16x16x32_i8 v[208:211], a[162:163], v[146:147], v[208:211]// 00000000A6E4: D3D700D0 0F4325A2
	v_mfma_i32_16x16x32_i8 v[212:215], a[160:161], v[168:169], v[212:215]// 00000000A6EC: D3D700D4 0F5351A0
	v_mfma_i32_16x16x32_i8 v[212:215], a[162:163], v[170:171], v[212:215]// 00000000A6F4: D3D700D4 0F5355A2
	v_mfma_i32_16x16x32_i8 v[216:219], a[164:165], v[144:145], v[216:219]// 00000000A6FC: D3D700D8 0F6321A4
	buffer_load_dwordx4 a[68:71], v41, s[12:15], 0 offen       // 00000000A704: E05C1000 80834429
	v_mfma_i32_16x16x32_i8 v[216:219], a[166:167], v[146:147], v[216:219]// 00000000A70C: D3D700D8 0F6325A6
	v_mfma_i32_16x16x32_i8 v[220:223], a[164:165], v[168:169], v[220:223]// 00000000A714: D3D700DC 0F7351A4
	v_mfma_i32_16x16x32_i8 v[220:223], a[166:167], v[170:171], v[220:223]// 00000000A71C: D3D700DC 0F7355A6
	v_mfma_i32_16x16x32_i8 v[224:227], a[168:169], v[144:145], v[224:227]// 00000000A724: D3D700E0 0F8321A8
	buffer_load_dwordx4 a[72:75], v42, s[12:15], 0 offen       // 00000000A72C: E05C1000 8083482A
	v_mfma_i32_16x16x32_i8 v[224:227], a[170:171], v[146:147], v[224:227]// 00000000A734: D3D700E0 0F8325AA
	v_mfma_i32_16x16x32_i8 v[228:231], a[168:169], v[168:169], v[228:231]// 00000000A73C: D3D700E4 0F9351A8
	v_mfma_i32_16x16x32_i8 v[228:231], a[170:171], v[170:171], v[228:231]// 00000000A744: D3D700E4 0F9355AA
	v_mfma_i32_16x16x32_i8 v[232:235], a[172:173], v[144:145], v[232:235]// 00000000A74C: D3D700E8 0FA321AC
	buffer_load_dwordx4 a[76:79], v43, s[12:15], 0 offen       // 00000000A754: E05C1000 80834C2B
	s_add_u32 s12, s78, s12                                    // 00000000A75C: 800C0C4E
	s_addc_u32 s13, 0, s13                                     // 00000000A760: 820D0D80
	v_mfma_i32_16x16x32_i8 v[232:235], a[174:175], v[146:147], v[232:235]// 00000000A764: D3D700E8 0FA325AE
	v_mfma_i32_16x16x32_i8 v[236:239], a[172:173], v[168:169], v[236:239]// 00000000A76C: D3D700EC 0FB351AC
	v_mfma_i32_16x16x32_i8 v[236:239], a[174:175], v[170:171], v[236:239]// 00000000A774: D3D700EC 0FB355AE
	s_waitcnt vmcnt(36)                                        // 00000000A77C: BF8C8F74
	v_mfma_i32_16x16x32_i8 v[208:211], a[176:177], v[148:149], v[208:211]// 00000000A780: D3D700D0 0F4329B0
	buffer_load_dwordx4 a[80:83], v40, s[12:15], 0 offen       // 00000000A788: E05C1000 80835028
	v_mfma_i32_16x16x32_i8 v[208:211], a[178:179], v[150:151], v[208:211]// 00000000A790: D3D700D0 0F432DB2
	v_mfma_i32_16x16x32_i8 v[212:215], a[176:177], v[172:173], v[212:215]// 00000000A798: D3D700D4 0F5359B0
	buffer_load_dword v12, v5, s[16:19], 0 offen               // 00000000A7A0: E0501000 80040C05
	v_mfma_i32_16x16x32_i8 v[212:215], a[178:179], v[174:175], v[212:215]// 00000000A7A8: D3D700D4 0F535DB2
	v_mfma_i32_16x16x32_i8 v[216:219], a[180:181], v[148:149], v[216:219]// 00000000A7B0: D3D700D8 0F6329B4
	buffer_load_dwordx4 a[84:87], v41, s[12:15], 0 offen       // 00000000A7B8: E05C1000 80835429
	v_mfma_i32_16x16x32_i8 v[216:219], a[182:183], v[150:151], v[216:219]// 00000000A7C0: D3D700D8 0F632DB6
	v_mfma_i32_16x16x32_i8 v[220:223], a[180:181], v[172:173], v[220:223]// 00000000A7C8: D3D700DC 0F7359B4
	v_mfma_i32_16x16x32_i8 v[220:223], a[182:183], v[174:175], v[220:223]// 00000000A7D0: D3D700DC 0F735DB6
	v_mfma_i32_16x16x32_i8 v[224:227], a[184:185], v[148:149], v[224:227]// 00000000A7D8: D3D700E0 0F8329B8
	buffer_load_dwordx4 a[88:91], v42, s[12:15], 0 offen       // 00000000A7E0: E05C1000 8083582A
	v_mfma_i32_16x16x32_i8 v[224:227], a[186:187], v[150:151], v[224:227]// 00000000A7E8: D3D700E0 0F832DBA
	v_mfma_i32_16x16x32_i8 v[228:231], a[184:185], v[172:173], v[228:231]// 00000000A7F0: D3D700E4 0F9359B8
	v_mfma_i32_16x16x32_i8 v[228:231], a[186:187], v[174:175], v[228:231]// 00000000A7F8: D3D700E4 0F935DBA
	v_mfma_i32_16x16x32_i8 v[232:235], a[188:189], v[148:149], v[232:235]// 00000000A800: D3D700E8 0FA329BC
	buffer_load_dwordx4 a[92:95], v43, s[12:15], 0 offen       // 00000000A808: E05C1000 80835C2B
	v_mfma_i32_16x16x32_i8 v[232:235], a[190:191], v[150:151], v[232:235]// 00000000A810: D3D700E8 0FA32DBE
	v_mfma_i32_16x16x32_i8 v[236:239], a[188:189], v[172:173], v[236:239]// 00000000A818: D3D700EC 0FB359BC
	v_mfma_i32_16x16x32_i8 v[236:239], a[190:191], v[174:175], v[236:239]// 00000000A820: D3D700EC 0FB35DBE
	s_add_u32 s60, 0x200, s80                                  // 00000000A828: 803C50FF 00000200
	s_cmp_lt_u32 s60, s81                                      // 00000000A830: BF0A513C
	s_cselect_b32 s56, s56, 0                                  // 00000000A834: 85388038
	s_cselect_b32 s78, s78, 0                                  // 00000000A838: 854E804E
	s_cselect_b32 s79, s79, 0                                  // 00000000A83C: 854F804F
	s_add_u32 s12, s56, s12                                    // 00000000A840: 800C0C38
	s_addc_u32 s13, 0, s13                                     // 00000000A844: 820D0D80
	s_add_u32 s16, s79, s16                                    // 00000000A848: 8010104F
	s_addc_u32 s17, 0, s17                                     // 00000000A84C: 82111180
	v_cvt_f32_i32_e32 v208, v208                               // 00000000A850: 7FA00BD0
	v_cvt_f32_i32_e32 v209, v209                               // 00000000A854: 7FA20BD1
	v_cvt_f32_i32_e32 v210, v210                               // 00000000A858: 7FA40BD2
	v_cvt_f32_i32_e32 v211, v211                               // 00000000A85C: 7FA60BD3
	v_mul_f32_e32 v208, v24, v208                              // 00000000A860: 0BA1A118
	v_mul_f32_e32 v209, v24, v209                              // 00000000A864: 0BA3A318
	v_mul_f32_e32 v210, v24, v210                              // 00000000A868: 0BA5A518
	v_mul_f32_e32 v211, v24, v211                              // 00000000A86C: 0BA7A718
	v_mul_f32_dpp v208, v13, v208 row_newbcast:0 row_mask:0xf bank_mask:0xf// 00000000A870: 0BA1A0FA FF01500D
	v_mul_f32_dpp v209, v13, v209 row_newbcast:1 row_mask:0xf bank_mask:0xf// 00000000A878: 0BA3A2FA FF01510D
	v_mul_f32_dpp v210, v13, v210 row_newbcast:2 row_mask:0xf bank_mask:0xf// 00000000A880: 0BA5A4FA FF01520D
	v_mul_f32_dpp v211, v13, v211 row_newbcast:3 row_mask:0xf bank_mask:0xf// 00000000A888: 0BA7A6FA FF01530D
	v_mul_f32_e32 v208, v20, v208                              // 00000000A890: 0BA1A114
	v_mul_f32_e32 v209, v20, v209                              // 00000000A894: 0BA3A314
	v_mul_f32_e32 v210, v20, v210                              // 00000000A898: 0BA5A514
	v_mul_f32_e32 v211, v20, v211                              // 00000000A89C: 0BA7A714
	v_cvt_f32_i32_e32 v212, v212                               // 00000000A8A0: 7FA80BD4
	v_cvt_f32_i32_e32 v213, v213                               // 00000000A8A4: 7FAA0BD5
	v_cvt_f32_i32_e32 v214, v214                               // 00000000A8A8: 7FAC0BD6
	v_cvt_f32_i32_e32 v215, v215                               // 00000000A8AC: 7FAE0BD7
	v_mul_f32_e32 v212, v25, v212                              // 00000000A8B0: 0BA9A919
	v_mul_f32_e32 v213, v25, v213                              // 00000000A8B4: 0BABAB19
	v_mul_f32_e32 v214, v25, v214                              // 00000000A8B8: 0BADAD19
	v_mul_f32_e32 v215, v25, v215                              // 00000000A8BC: 0BAFAF19
	v_mul_f32_dpp v212, v13, v212 row_newbcast:0 row_mask:0xf bank_mask:0xf// 00000000A8C0: 0BA9A8FA FF01500D
	v_mul_f32_dpp v213, v13, v213 row_newbcast:1 row_mask:0xf bank_mask:0xf// 00000000A8C8: 0BABAAFA FF01510D
	v_mul_f32_dpp v214, v13, v214 row_newbcast:2 row_mask:0xf bank_mask:0xf// 00000000A8D0: 0BADACFA FF01520D
	v_mul_f32_dpp v215, v13, v215 row_newbcast:3 row_mask:0xf bank_mask:0xf// 00000000A8D8: 0BAFAEFA FF01530D
	v_mul_f32_e32 v212, v21, v212                              // 00000000A8E0: 0BA9A915
	v_mul_f32_e32 v213, v21, v213                              // 00000000A8E4: 0BABAB15
	v_mul_f32_e32 v214, v21, v214                              // 00000000A8E8: 0BADAD15
	v_mul_f32_e32 v215, v21, v215                              // 00000000A8EC: 0BAFAF15
	v_cvt_f32_i32_e32 v216, v216                               // 00000000A8F0: 7FB00BD8
	v_cvt_f32_i32_e32 v217, v217                               // 00000000A8F4: 7FB20BD9
	v_cvt_f32_i32_e32 v218, v218                               // 00000000A8F8: 7FB40BDA
	v_cvt_f32_i32_e32 v219, v219                               // 00000000A8FC: 7FB60BDB
	v_mul_f32_e32 v216, v24, v216                              // 00000000A900: 0BB1B118
	v_mul_f32_e32 v217, v24, v217                              // 00000000A904: 0BB3B318
	v_mul_f32_e32 v218, v24, v218                              // 00000000A908: 0BB5B518
	v_mul_f32_e32 v219, v24, v219                              // 00000000A90C: 0BB7B718
	v_mul_f32_dpp v216, v13, v216 row_newbcast:4 row_mask:0xf bank_mask:0xf// 00000000A910: 0BB1B0FA FF01540D
	v_mul_f32_dpp v217, v13, v217 row_newbcast:5 row_mask:0xf bank_mask:0xf// 00000000A918: 0BB3B2FA FF01550D
	v_mul_f32_dpp v218, v13, v218 row_newbcast:6 row_mask:0xf bank_mask:0xf// 00000000A920: 0BB5B4FA FF01560D
	v_mul_f32_dpp v219, v13, v219 row_newbcast:7 row_mask:0xf bank_mask:0xf// 00000000A928: 0BB7B6FA FF01570D
	v_mul_f32_e32 v216, v20, v216                              // 00000000A930: 0BB1B114
	v_mul_f32_e32 v217, v20, v217                              // 00000000A934: 0BB3B314
	v_mul_f32_e32 v218, v20, v218                              // 00000000A938: 0BB5B514
	v_mul_f32_e32 v219, v20, v219                              // 00000000A93C: 0BB7B714
	v_cvt_f32_i32_e32 v220, v220                               // 00000000A940: 7FB80BDC
	v_cvt_f32_i32_e32 v221, v221                               // 00000000A944: 7FBA0BDD
	v_cvt_f32_i32_e32 v222, v222                               // 00000000A948: 7FBC0BDE
	v_cvt_f32_i32_e32 v223, v223                               // 00000000A94C: 7FBE0BDF
	v_mul_f32_e32 v220, v25, v220                              // 00000000A950: 0BB9B919
	v_mul_f32_e32 v221, v25, v221                              // 00000000A954: 0BBBBB19
	v_mul_f32_e32 v222, v25, v222                              // 00000000A958: 0BBDBD19
	v_mul_f32_e32 v223, v25, v223                              // 00000000A95C: 0BBFBF19
	v_mul_f32_dpp v220, v13, v220 row_newbcast:4 row_mask:0xf bank_mask:0xf// 00000000A960: 0BB9B8FA FF01540D
	v_mul_f32_dpp v221, v13, v221 row_newbcast:5 row_mask:0xf bank_mask:0xf// 00000000A968: 0BBBBAFA FF01550D
	v_mul_f32_dpp v222, v13, v222 row_newbcast:6 row_mask:0xf bank_mask:0xf// 00000000A970: 0BBDBCFA FF01560D
	v_mul_f32_dpp v223, v13, v223 row_newbcast:7 row_mask:0xf bank_mask:0xf// 00000000A978: 0BBFBEFA FF01570D
	v_mul_f32_e32 v220, v21, v220                              // 00000000A980: 0BB9B915
	v_mul_f32_e32 v221, v21, v221                              // 00000000A984: 0BBBBB15
	v_mul_f32_e32 v222, v21, v222                              // 00000000A988: 0BBDBD15
	v_mul_f32_e32 v223, v21, v223                              // 00000000A98C: 0BBFBF15
	v_cvt_f32_i32_e32 v224, v224                               // 00000000A990: 7FC00BE0
	v_cvt_f32_i32_e32 v225, v225                               // 00000000A994: 7FC20BE1
	v_cvt_f32_i32_e32 v226, v226                               // 00000000A998: 7FC40BE2
	v_cvt_f32_i32_e32 v227, v227                               // 00000000A99C: 7FC60BE3
	v_mul_f32_e32 v224, v24, v224                              // 00000000A9A0: 0BC1C118
	v_mul_f32_e32 v225, v24, v225                              // 00000000A9A4: 0BC3C318
	v_mul_f32_e32 v226, v24, v226                              // 00000000A9A8: 0BC5C518
	v_mul_f32_e32 v227, v24, v227                              // 00000000A9AC: 0BC7C718
	v_mul_f32_dpp v224, v13, v224 row_newbcast:8 row_mask:0xf bank_mask:0xf// 00000000A9B0: 0BC1C0FA FF01580D
	v_mul_f32_dpp v225, v13, v225 row_newbcast:9 row_mask:0xf bank_mask:0xf// 00000000A9B8: 0BC3C2FA FF01590D
	v_mul_f32_dpp v226, v13, v226 row_newbcast:10 row_mask:0xf bank_mask:0xf// 00000000A9C0: 0BC5C4FA FF015A0D
	v_mul_f32_dpp v227, v13, v227 row_newbcast:11 row_mask:0xf bank_mask:0xf// 00000000A9C8: 0BC7C6FA FF015B0D
	v_mul_f32_e32 v224, v20, v224                              // 00000000A9D0: 0BC1C114
	v_mul_f32_e32 v225, v20, v225                              // 00000000A9D4: 0BC3C314
	v_mul_f32_e32 v226, v20, v226                              // 00000000A9D8: 0BC5C514
	v_mul_f32_e32 v227, v20, v227                              // 00000000A9DC: 0BC7C714
	v_cvt_f32_i32_e32 v228, v228                               // 00000000A9E0: 7FC80BE4
	v_cvt_f32_i32_e32 v229, v229                               // 00000000A9E4: 7FCA0BE5
	v_cvt_f32_i32_e32 v230, v230                               // 00000000A9E8: 7FCC0BE6
	v_cvt_f32_i32_e32 v231, v231                               // 00000000A9EC: 7FCE0BE7
	v_mul_f32_e32 v228, v25, v228                              // 00000000A9F0: 0BC9C919
	v_mul_f32_e32 v229, v25, v229                              // 00000000A9F4: 0BCBCB19
	v_mul_f32_e32 v230, v25, v230                              // 00000000A9F8: 0BCDCD19
	v_mul_f32_e32 v231, v25, v231                              // 00000000A9FC: 0BCFCF19
	v_mul_f32_dpp v228, v13, v228 row_newbcast:8 row_mask:0xf bank_mask:0xf// 00000000AA00: 0BC9C8FA FF01580D
	v_mul_f32_dpp v229, v13, v229 row_newbcast:9 row_mask:0xf bank_mask:0xf// 00000000AA08: 0BCBCAFA FF01590D
	v_mul_f32_dpp v230, v13, v230 row_newbcast:10 row_mask:0xf bank_mask:0xf// 00000000AA10: 0BCDCCFA FF015A0D
	v_mul_f32_dpp v231, v13, v231 row_newbcast:11 row_mask:0xf bank_mask:0xf// 00000000AA18: 0BCFCEFA FF015B0D
	v_mul_f32_e32 v228, v21, v228                              // 00000000AA20: 0BC9C915
	v_mul_f32_e32 v229, v21, v229                              // 00000000AA24: 0BCBCB15
	v_mul_f32_e32 v230, v21, v230                              // 00000000AA28: 0BCDCD15
	v_mul_f32_e32 v231, v21, v231                              // 00000000AA2C: 0BCFCF15
	v_cvt_f32_i32_e32 v232, v232                               // 00000000AA30: 7FD00BE8
	v_cvt_f32_i32_e32 v233, v233                               // 00000000AA34: 7FD20BE9
	v_cvt_f32_i32_e32 v234, v234                               // 00000000AA38: 7FD40BEA
	v_cvt_f32_i32_e32 v235, v235                               // 00000000AA3C: 7FD60BEB
	v_mul_f32_e32 v232, v24, v232                              // 00000000AA40: 0BD1D118
	v_mul_f32_e32 v233, v24, v233                              // 00000000AA44: 0BD3D318
	v_mul_f32_e32 v234, v24, v234                              // 00000000AA48: 0BD5D518
	v_mul_f32_e32 v235, v24, v235                              // 00000000AA4C: 0BD7D718
	v_mul_f32_dpp v232, v13, v232 row_newbcast:12 row_mask:0xf bank_mask:0xf// 00000000AA50: 0BD1D0FA FF015C0D
	v_mul_f32_dpp v233, v13, v233 row_newbcast:13 row_mask:0xf bank_mask:0xf// 00000000AA58: 0BD3D2FA FF015D0D
	v_mul_f32_dpp v234, v13, v234 row_newbcast:14 row_mask:0xf bank_mask:0xf// 00000000AA60: 0BD5D4FA FF015E0D
	v_mul_f32_dpp v235, v13, v235 row_newbcast:15 row_mask:0xf bank_mask:0xf// 00000000AA68: 0BD7D6FA FF015F0D
	v_mul_f32_e32 v232, v20, v232                              // 00000000AA70: 0BD1D114
	v_mul_f32_e32 v233, v20, v233                              // 00000000AA74: 0BD3D314
	v_mul_f32_e32 v234, v20, v234                              // 00000000AA78: 0BD5D514
	v_mul_f32_e32 v235, v20, v235                              // 00000000AA7C: 0BD7D714
	v_cvt_f32_i32_e32 v236, v236                               // 00000000AA80: 7FD80BEC
	v_cvt_f32_i32_e32 v237, v237                               // 00000000AA84: 7FDA0BED
	v_cvt_f32_i32_e32 v238, v238                               // 00000000AA88: 7FDC0BEE
	v_cvt_f32_i32_e32 v239, v239                               // 00000000AA8C: 7FDE0BEF
	v_mul_f32_e32 v236, v25, v236                              // 00000000AA90: 0BD9D919
	v_mul_f32_e32 v237, v25, v237                              // 00000000AA94: 0BDBDB19
	v_mul_f32_e32 v238, v25, v238                              // 00000000AA98: 0BDDDD19
	v_mul_f32_e32 v239, v25, v239                              // 00000000AA9C: 0BDFDF19
	v_mul_f32_dpp v236, v13, v236 row_newbcast:12 row_mask:0xf bank_mask:0xf// 00000000AAA0: 0BD9D8FA FF015C0D
	v_mul_f32_dpp v237, v13, v237 row_newbcast:13 row_mask:0xf bank_mask:0xf// 00000000AAA8: 0BDBDAFA FF015D0D
	v_mul_f32_dpp v238, v13, v238 row_newbcast:14 row_mask:0xf bank_mask:0xf// 00000000AAB0: 0BDDDCFA FF015E0D
	v_mul_f32_dpp v239, v13, v239 row_newbcast:15 row_mask:0xf bank_mask:0xf// 00000000AAB8: 0BDFDEFA FF015F0D
	v_mul_f32_e32 v236, v21, v236                              // 00000000AAC0: 0BD9D915
	v_mul_f32_e32 v237, v21, v237                              // 00000000AAC4: 0BDBDB15
	v_mul_f32_e32 v238, v21, v238                              // 00000000AAC8: 0BDDDD15
	v_mul_f32_e32 v239, v21, v239                              // 00000000AACC: 0BDFDF15
	v_cvt_pkrtz_f16_f32 v208, v208, v209                       // 00000000AAD0: D29600D0 0003A3D0
	v_cvt_pkrtz_f16_f32 v209, v210, v211                       // 00000000AAD8: D29600D1 0003A7D2
	v_cvt_pkrtz_f16_f32 v210, v212, v213                       // 00000000AAE0: D29600D2 0003ABD4
	v_cvt_pkrtz_f16_f32 v211, v214, v215                       // 00000000AAE8: D29600D3 0003AFD6
	v_cvt_pkrtz_f16_f32 v212, v216, v217                       // 00000000AAF0: D29600D4 0003B3D8
	v_cvt_pkrtz_f16_f32 v213, v218, v219                       // 00000000AAF8: D29600D5 0003B7DA
	v_cvt_pkrtz_f16_f32 v214, v220, v221                       // 00000000AB00: D29600D6 0003BBDC
	v_cvt_pkrtz_f16_f32 v215, v222, v223                       // 00000000AB08: D29600D7 0003BFDE
	v_cvt_pkrtz_f16_f32 v216, v224, v225                       // 00000000AB10: D29600D8 0003C3E0
	v_cvt_pkrtz_f16_f32 v217, v226, v227                       // 00000000AB18: D29600D9 0003C7E2
	v_cvt_pkrtz_f16_f32 v218, v228, v229                       // 00000000AB20: D29600DA 0003CBE4
	v_cvt_pkrtz_f16_f32 v219, v230, v231                       // 00000000AB28: D29600DB 0003CFE6
	v_cvt_pkrtz_f16_f32 v220, v232, v233                       // 00000000AB30: D29600DC 0003D3E8
	v_cvt_pkrtz_f16_f32 v221, v234, v235                       // 00000000AB38: D29600DD 0003D7EA
	v_cvt_pkrtz_f16_f32 v222, v236, v237                       // 00000000AB40: D29600DE 0003DBEC
	v_cvt_pkrtz_f16_f32 v223, v238, v239                       // 00000000AB48: D29600DF 0003DFEE
	ds_write_b64 v3, v[208:209] offset:30976                   // 00000000AB50: D89A7900 0000D003
	ds_write_b64 v3, v[210:211] offset:39680                   // 00000000AB58: D89A9B00 0000D203
	ds_write_b64 v3, v[212:213] offset:33152                   // 00000000AB60: D89A8180 0000D403
	ds_write_b64 v3, v[214:215] offset:41856                   // 00000000AB68: D89AA380 0000D603
	ds_write_b64 v3, v[216:217] offset:35328                   // 00000000AB70: D89A8A00 0000D803
	ds_write_b64 v3, v[218:219] offset:44032                   // 00000000AB78: D89AAC00 0000DA03
	ds_write_b64 v3, v[220:221] offset:37504                   // 00000000AB80: D89A9280 0000DC03
	ds_write_b64 v3, v[222:223] offset:46208                   // 00000000AB88: D89AB480 0000DE03
	s_waitcnt lgkmcnt(0)                                       // 00000000AB90: BF8CC07F
	s_barrier                                                  // 00000000AB94: BF8A0000
	ds_read_b32 v64, v4 offset:30976                           // 00000000AB98: D86C7900 40000004
	ds_read_b32 v65, v4 offset:35328                           // 00000000ABA0: D86C8A00 41000004
	ds_read_b32 v66, v4 offset:31008                           // 00000000ABA8: D86C7920 42000004
	ds_read_b32 v67, v4 offset:35360                           // 00000000ABB0: D86C8A20 43000004
	ds_read_b32 v68, v4 offset:31040                           // 00000000ABB8: D86C7940 44000004
	ds_read_b32 v69, v4 offset:35392                           // 00000000ABC0: D86C8A40 45000004
	ds_read_b32 v70, v4 offset:31072                           // 00000000ABC8: D86C7960 46000004
	ds_read_b32 v71, v4 offset:35424                           // 00000000ABD0: D86C8A60 47000004
	ds_read_b32 v72, v4 offset:39680                           // 00000000ABD8: D86C9B00 48000004
	ds_read_b32 v73, v4 offset:44032                           // 00000000ABE0: D86CAC00 49000004
	ds_read_b32 v74, v4 offset:39712                           // 00000000ABE8: D86C9B20 4A000004
	ds_read_b32 v75, v4 offset:44064                           // 00000000ABF0: D86CAC20 4B000004
	ds_read_b32 v76, v4 offset:39744                           // 00000000ABF8: D86C9B40 4C000004
	ds_read_b32 v77, v4 offset:44096                           // 00000000AC00: D86CAC40 4D000004
	ds_read_b32 v78, v4 offset:39776                           // 00000000AC08: D86C9B60 4E000004
	ds_read_b32 v79, v4 offset:44128                           // 00000000AC10: D86CAC60 4F000004
	s_waitcnt lgkmcnt(0)                                       // 00000000AC18: BF8CC07F
	s_mov_b64 exec, s[20:21]                                   // 00000000AC1C: BEFE0114
	global_atomic_pk_add_f16 v80, v64, s[8:9]                  // 00000000AC20: DD388000 00084050
	s_mov_b64 exec, s[36:37]                                   // 00000000AC28: BEFE0124
	s_mov_b64 exec, s[20:21]                                   // 00000000AC2C: BEFE0114
	global_atomic_pk_add_f16 v80, v65, s[8:9] offset:256       // 00000000AC30: DD388100 00084150
	s_mov_b64 exec, s[36:37]                                   // 00000000AC38: BEFE0124
	s_mov_b64 exec, s[22:23]                                   // 00000000AC3C: BEFE0116
	global_atomic_pk_add_f16 v82, v66, s[8:9]                  // 00000000AC40: DD388000 00084252
	s_mov_b64 exec, s[36:37]                                   // 00000000AC48: BEFE0124
	s_mov_b64 exec, s[22:23]                                   // 00000000AC4C: BEFE0116
	global_atomic_pk_add_f16 v82, v67, s[8:9] offset:256       // 00000000AC50: DD388100 00084352
	s_mov_b64 exec, s[36:37]                                   // 00000000AC58: BEFE0124
	s_mov_b64 exec, s[24:25]                                   // 00000000AC5C: BEFE0118
	global_atomic_pk_add_f16 v84, v68, s[8:9]                  // 00000000AC60: DD388000 00084454
	s_mov_b64 exec, s[36:37]                                   // 00000000AC68: BEFE0124
	s_mov_b64 exec, s[24:25]                                   // 00000000AC6C: BEFE0118
	global_atomic_pk_add_f16 v84, v69, s[8:9] offset:256       // 00000000AC70: DD388100 00084554
	s_mov_b64 exec, s[36:37]                                   // 00000000AC78: BEFE0124
	s_mov_b64 exec, s[26:27]                                   // 00000000AC7C: BEFE011A
	global_atomic_pk_add_f16 v86, v70, s[8:9]                  // 00000000AC80: DD388000 00084656
	s_mov_b64 exec, s[36:37]                                   // 00000000AC88: BEFE0124
	s_mov_b64 exec, s[26:27]                                   // 00000000AC8C: BEFE011A
	global_atomic_pk_add_f16 v86, v71, s[8:9] offset:256       // 00000000AC90: DD388100 00084756
	s_mov_b64 exec, s[36:37]                                   // 00000000AC98: BEFE0124
	s_mov_b64 exec, s[28:29]                                   // 00000000AC9C: BEFE011C
	global_atomic_pk_add_f16 v88, v72, s[8:9]                  // 00000000ACA0: DD388000 00084858
	s_mov_b64 exec, s[36:37]                                   // 00000000ACA8: BEFE0124
	s_mov_b64 exec, s[28:29]                                   // 00000000ACAC: BEFE011C
	global_atomic_pk_add_f16 v88, v73, s[8:9] offset:256       // 00000000ACB0: DD388100 00084958
	s_mov_b64 exec, s[36:37]                                   // 00000000ACB8: BEFE0124
	s_mov_b64 exec, s[30:31]                                   // 00000000ACBC: BEFE011E
	global_atomic_pk_add_f16 v90, v74, s[8:9]                  // 00000000ACC0: DD388000 00084A5A
	s_mov_b64 exec, s[36:37]                                   // 00000000ACC8: BEFE0124
	s_mov_b64 exec, s[30:31]                                   // 00000000ACCC: BEFE011E
	global_atomic_pk_add_f16 v90, v75, s[8:9] offset:256       // 00000000ACD0: DD388100 00084B5A
	s_mov_b64 exec, s[36:37]                                   // 00000000ACD8: BEFE0124
	s_mov_b64 exec, s[32:33]                                   // 00000000ACDC: BEFE0120
	global_atomic_pk_add_f16 v92, v76, s[8:9]                  // 00000000ACE0: DD388000 00084C5C
	s_mov_b64 exec, s[36:37]                                   // 00000000ACE8: BEFE0124
	s_mov_b64 exec, s[32:33]                                   // 00000000ACEC: BEFE0120
	global_atomic_pk_add_f16 v92, v77, s[8:9] offset:256       // 00000000ACF0: DD388100 00084D5C
	s_mov_b64 exec, s[36:37]                                   // 00000000ACF8: BEFE0124
	s_mov_b64 exec, s[34:35]                                   // 00000000ACFC: BEFE0122
	global_atomic_pk_add_f16 v94, v78, s[8:9]                  // 00000000AD00: DD388000 00084E5E
	s_mov_b64 exec, s[36:37]                                   // 00000000AD08: BEFE0124
	s_mov_b64 exec, s[34:35]                                   // 00000000AD0C: BEFE0122
	global_atomic_pk_add_f16 v94, v79, s[8:9] offset:256       // 00000000AD10: DD388100 00084F5E
	s_mov_b64 exec, s[36:37]                                   // 00000000AD18: BEFE0124
	s_add_u32 s8, s59, s8                                      // 00000000AD1C: 8008083B
	s_addc_u32 s9, 0, s9                                       // 00000000AD20: 82090980
	s_addk_i32 s80, 0x100                                      // 00000000AD24: B7500100
	s_cmp_lt_i32 s80, s81                                      // 00000000AD28: BF045150
	s_cbranch_scc0 label_111E                                  // 00000000AD2C: BF84F152
	s_branch label_1B42                                        // 00000000AD30: BF82FB75

000000000000ad34 <label_1FCD>:
	s_waitcnt vmcnt(0) expcnt(0) lgkmcnt(0)                    // 00000000AD34: BF8C0000
	s_endpgm                                                   // 00000000AD38: BF810000
